;; amdgpu-corpus repo=ROCm/rocFFT kind=compiled arch=gfx906 opt=O3
	.text
	.amdgcn_target "amdgcn-amd-amdhsa--gfx906"
	.amdhsa_code_object_version 6
	.protected	fft_rtc_back_len425_factors_17_5_5_wgs_51_tpt_17_halfLds_dp_ip_CI_unitstride_sbrr_dirReg ; -- Begin function fft_rtc_back_len425_factors_17_5_5_wgs_51_tpt_17_halfLds_dp_ip_CI_unitstride_sbrr_dirReg
	.globl	fft_rtc_back_len425_factors_17_5_5_wgs_51_tpt_17_halfLds_dp_ip_CI_unitstride_sbrr_dirReg
	.p2align	8
	.type	fft_rtc_back_len425_factors_17_5_5_wgs_51_tpt_17_halfLds_dp_ip_CI_unitstride_sbrr_dirReg,@function
fft_rtc_back_len425_factors_17_5_5_wgs_51_tpt_17_halfLds_dp_ip_CI_unitstride_sbrr_dirReg: ; @fft_rtc_back_len425_factors_17_5_5_wgs_51_tpt_17_halfLds_dp_ip_CI_unitstride_sbrr_dirReg
; %bb.0:
	v_mul_u32_u24_e32 v1, 0xf10, v0
	s_load_dwordx2 s[2:3], s[4:5], 0x50
	s_load_dwordx4 s[8:11], s[4:5], 0x0
	s_load_dwordx2 s[12:13], s[4:5], 0x18
	v_lshrrev_b32_e32 v1, 16, v1
	v_mad_u64_u32 v[140:141], s[0:1], s6, 3, v[1:2]
	v_mov_b32_e32 v3, 0
	s_waitcnt lgkmcnt(0)
	v_cmp_lt_u64_e64 s[0:1], s[10:11], 2
	v_mov_b32_e32 v141, v3
	v_mov_b32_e32 v1, 0
	;; [unrolled: 1-line block ×3, first 2 shown]
	s_and_b64 vcc, exec, s[0:1]
	v_mov_b32_e32 v2, 0
	v_mov_b32_e32 v8, v141
	s_cbranch_vccnz .LBB0_8
; %bb.1:
	s_load_dwordx2 s[0:1], s[4:5], 0x10
	s_add_u32 s6, s12, 8
	s_addc_u32 s7, s13, 0
	v_mov_b32_e32 v1, 0
	v_mov_b32_e32 v5, v140
	s_waitcnt lgkmcnt(0)
	s_add_u32 s16, s0, 8
	s_mov_b64 s[14:15], 1
	v_mov_b32_e32 v2, 0
	s_addc_u32 s17, s1, 0
	v_mov_b32_e32 v6, v141
.LBB0_2:                                ; =>This Inner Loop Header: Depth=1
	s_load_dwordx2 s[18:19], s[16:17], 0x0
                                        ; implicit-def: $vgpr7_vgpr8
	s_waitcnt lgkmcnt(0)
	v_or_b32_e32 v4, s19, v6
	v_cmp_ne_u64_e32 vcc, 0, v[3:4]
	s_and_saveexec_b64 s[0:1], vcc
	s_xor_b64 s[20:21], exec, s[0:1]
	s_cbranch_execz .LBB0_4
; %bb.3:                                ;   in Loop: Header=BB0_2 Depth=1
	v_cvt_f32_u32_e32 v4, s18
	v_cvt_f32_u32_e32 v7, s19
	s_sub_u32 s0, 0, s18
	s_subb_u32 s1, 0, s19
	v_mac_f32_e32 v4, 0x4f800000, v7
	v_rcp_f32_e32 v4, v4
	v_mul_f32_e32 v4, 0x5f7ffffc, v4
	v_mul_f32_e32 v7, 0x2f800000, v4
	v_trunc_f32_e32 v7, v7
	v_mac_f32_e32 v4, 0xcf800000, v7
	v_cvt_u32_f32_e32 v7, v7
	v_cvt_u32_f32_e32 v4, v4
	v_mul_lo_u32 v8, s0, v7
	v_mul_hi_u32 v9, s0, v4
	v_mul_lo_u32 v11, s1, v4
	v_mul_lo_u32 v10, s0, v4
	v_add_u32_e32 v8, v9, v8
	v_add_u32_e32 v8, v8, v11
	v_mul_hi_u32 v9, v4, v10
	v_mul_lo_u32 v11, v4, v8
	v_mul_hi_u32 v13, v4, v8
	v_mul_hi_u32 v12, v7, v10
	v_mul_lo_u32 v10, v7, v10
	v_mul_hi_u32 v14, v7, v8
	v_add_co_u32_e32 v9, vcc, v9, v11
	v_addc_co_u32_e32 v11, vcc, 0, v13, vcc
	v_mul_lo_u32 v8, v7, v8
	v_add_co_u32_e32 v9, vcc, v9, v10
	v_addc_co_u32_e32 v9, vcc, v11, v12, vcc
	v_addc_co_u32_e32 v10, vcc, 0, v14, vcc
	v_add_co_u32_e32 v8, vcc, v9, v8
	v_addc_co_u32_e32 v9, vcc, 0, v10, vcc
	v_add_co_u32_e32 v4, vcc, v4, v8
	v_addc_co_u32_e32 v7, vcc, v7, v9, vcc
	v_mul_lo_u32 v8, s0, v7
	v_mul_hi_u32 v9, s0, v4
	v_mul_lo_u32 v10, s1, v4
	v_mul_lo_u32 v11, s0, v4
	v_add_u32_e32 v8, v9, v8
	v_add_u32_e32 v8, v8, v10
	v_mul_lo_u32 v12, v4, v8
	v_mul_hi_u32 v13, v4, v11
	v_mul_hi_u32 v14, v4, v8
	;; [unrolled: 1-line block ×3, first 2 shown]
	v_mul_lo_u32 v11, v7, v11
	v_mul_hi_u32 v9, v7, v8
	v_add_co_u32_e32 v12, vcc, v13, v12
	v_addc_co_u32_e32 v13, vcc, 0, v14, vcc
	v_mul_lo_u32 v8, v7, v8
	v_add_co_u32_e32 v11, vcc, v12, v11
	v_addc_co_u32_e32 v10, vcc, v13, v10, vcc
	v_addc_co_u32_e32 v9, vcc, 0, v9, vcc
	v_add_co_u32_e32 v8, vcc, v10, v8
	v_addc_co_u32_e32 v9, vcc, 0, v9, vcc
	v_add_co_u32_e32 v4, vcc, v4, v8
	v_addc_co_u32_e32 v9, vcc, v7, v9, vcc
	v_mad_u64_u32 v[7:8], s[0:1], v5, v9, 0
	v_mul_hi_u32 v10, v5, v4
	v_add_co_u32_e32 v11, vcc, v10, v7
	v_addc_co_u32_e32 v12, vcc, 0, v8, vcc
	v_mad_u64_u32 v[7:8], s[0:1], v6, v4, 0
	v_mad_u64_u32 v[9:10], s[0:1], v6, v9, 0
	v_add_co_u32_e32 v4, vcc, v11, v7
	v_addc_co_u32_e32 v4, vcc, v12, v8, vcc
	v_addc_co_u32_e32 v7, vcc, 0, v10, vcc
	v_add_co_u32_e32 v4, vcc, v4, v9
	v_addc_co_u32_e32 v9, vcc, 0, v7, vcc
	v_mul_lo_u32 v10, s19, v4
	v_mul_lo_u32 v11, s18, v9
	v_mad_u64_u32 v[7:8], s[0:1], s18, v4, 0
	v_add3_u32 v8, v8, v11, v10
	v_sub_u32_e32 v10, v6, v8
	v_mov_b32_e32 v11, s19
	v_sub_co_u32_e32 v7, vcc, v5, v7
	v_subb_co_u32_e64 v10, s[0:1], v10, v11, vcc
	v_subrev_co_u32_e64 v11, s[0:1], s18, v7
	v_subbrev_co_u32_e64 v10, s[0:1], 0, v10, s[0:1]
	v_cmp_le_u32_e64 s[0:1], s19, v10
	v_cndmask_b32_e64 v12, 0, -1, s[0:1]
	v_cmp_le_u32_e64 s[0:1], s18, v11
	v_cndmask_b32_e64 v11, 0, -1, s[0:1]
	v_cmp_eq_u32_e64 s[0:1], s19, v10
	v_cndmask_b32_e64 v10, v12, v11, s[0:1]
	v_add_co_u32_e64 v11, s[0:1], 2, v4
	v_addc_co_u32_e64 v12, s[0:1], 0, v9, s[0:1]
	v_add_co_u32_e64 v13, s[0:1], 1, v4
	v_addc_co_u32_e64 v14, s[0:1], 0, v9, s[0:1]
	v_subb_co_u32_e32 v8, vcc, v6, v8, vcc
	v_cmp_ne_u32_e64 s[0:1], 0, v10
	v_cmp_le_u32_e32 vcc, s19, v8
	v_cndmask_b32_e64 v10, v14, v12, s[0:1]
	v_cndmask_b32_e64 v12, 0, -1, vcc
	v_cmp_le_u32_e32 vcc, s18, v7
	v_cndmask_b32_e64 v7, 0, -1, vcc
	v_cmp_eq_u32_e32 vcc, s19, v8
	v_cndmask_b32_e32 v7, v12, v7, vcc
	v_cmp_ne_u32_e32 vcc, 0, v7
	v_cndmask_b32_e64 v7, v13, v11, s[0:1]
	v_cndmask_b32_e32 v8, v9, v10, vcc
	v_cndmask_b32_e32 v7, v4, v7, vcc
.LBB0_4:                                ;   in Loop: Header=BB0_2 Depth=1
	s_andn2_saveexec_b64 s[0:1], s[20:21]
	s_cbranch_execz .LBB0_6
; %bb.5:                                ;   in Loop: Header=BB0_2 Depth=1
	v_cvt_f32_u32_e32 v4, s18
	s_sub_i32 s20, 0, s18
	v_rcp_iflag_f32_e32 v4, v4
	v_mul_f32_e32 v4, 0x4f7ffffe, v4
	v_cvt_u32_f32_e32 v4, v4
	v_mul_lo_u32 v7, s20, v4
	v_mul_hi_u32 v7, v4, v7
	v_add_u32_e32 v4, v4, v7
	v_mul_hi_u32 v4, v5, v4
	v_mul_lo_u32 v7, v4, s18
	v_add_u32_e32 v8, 1, v4
	v_sub_u32_e32 v7, v5, v7
	v_subrev_u32_e32 v9, s18, v7
	v_cmp_le_u32_e32 vcc, s18, v7
	v_cndmask_b32_e32 v7, v7, v9, vcc
	v_cndmask_b32_e32 v4, v4, v8, vcc
	v_add_u32_e32 v8, 1, v4
	v_cmp_le_u32_e32 vcc, s18, v7
	v_cndmask_b32_e32 v7, v4, v8, vcc
	v_mov_b32_e32 v8, v3
.LBB0_6:                                ;   in Loop: Header=BB0_2 Depth=1
	s_or_b64 exec, exec, s[0:1]
	v_mul_lo_u32 v4, v8, s18
	v_mul_lo_u32 v11, v7, s19
	v_mad_u64_u32 v[9:10], s[0:1], v7, s18, 0
	s_load_dwordx2 s[0:1], s[6:7], 0x0
	s_add_u32 s14, s14, 1
	v_add3_u32 v4, v10, v11, v4
	v_sub_co_u32_e32 v5, vcc, v5, v9
	v_subb_co_u32_e32 v4, vcc, v6, v4, vcc
	s_waitcnt lgkmcnt(0)
	v_mul_lo_u32 v4, s0, v4
	v_mul_lo_u32 v6, s1, v5
	v_mad_u64_u32 v[1:2], s[0:1], s0, v5, v[1:2]
	s_addc_u32 s15, s15, 0
	s_add_u32 s6, s6, 8
	v_add3_u32 v2, v6, v2, v4
	v_mov_b32_e32 v4, s10
	v_mov_b32_e32 v5, s11
	s_addc_u32 s7, s7, 0
	v_cmp_ge_u64_e32 vcc, s[14:15], v[4:5]
	s_add_u32 s16, s16, 8
	s_addc_u32 s17, s17, 0
	s_cbranch_vccnz .LBB0_8
; %bb.7:                                ;   in Loop: Header=BB0_2 Depth=1
	v_mov_b32_e32 v5, v7
	v_mov_b32_e32 v6, v8
	s_branch .LBB0_2
.LBB0_8:
	s_lshl_b64 s[0:1], s[10:11], 3
	s_add_u32 s0, s12, s0
	s_addc_u32 s1, s13, s1
	s_load_dwordx2 s[6:7], s[0:1], 0x0
	s_load_dwordx2 s[10:11], s[4:5], 0x20
                                        ; implicit-def: $vgpr62_vgpr63
                                        ; implicit-def: $vgpr58_vgpr59
                                        ; implicit-def: $vgpr54_vgpr55
                                        ; implicit-def: $vgpr46_vgpr47
                                        ; implicit-def: $vgpr34_vgpr35
                                        ; implicit-def: $vgpr22_vgpr23
                                        ; implicit-def: $vgpr14_vgpr15
                                        ; implicit-def: $vgpr10_vgpr11
                                        ; implicit-def: $vgpr18_vgpr19
                                        ; implicit-def: $vgpr26_vgpr27
                                        ; implicit-def: $vgpr30_vgpr31
                                        ; implicit-def: $vgpr42_vgpr43
                                        ; implicit-def: $vgpr50_vgpr51
                                        ; implicit-def: $vgpr66_vgpr67
                                        ; implicit-def: $vgpr38_vgpr39
                                        ; implicit-def: $vgpr114_vgpr115
                                        ; implicit-def: $vgpr118_vgpr119
                                        ; implicit-def: $vgpr122_vgpr123
                                        ; implicit-def: $vgpr106_vgpr107
                                        ; implicit-def: $vgpr98_vgpr99
                                        ; implicit-def: $vgpr90_vgpr91
                                        ; implicit-def: $vgpr82_vgpr83
                                        ; implicit-def: $vgpr74_vgpr75
                                        ; implicit-def: $vgpr70_vgpr71
                                        ; implicit-def: $vgpr78_vgpr79
                                        ; implicit-def: $vgpr86_vgpr87
                                        ; implicit-def: $vgpr94_vgpr95
                                        ; implicit-def: $vgpr102_vgpr103
                                        ; implicit-def: $vgpr126_vgpr127
                                        ; implicit-def: $vgpr130_vgpr131
                                        ; implicit-def: $vgpr134_vgpr135
                                        ; implicit-def: $vgpr110_vgpr111
	s_waitcnt lgkmcnt(0)
	v_mad_u64_u32 v[1:2], s[0:1], s6, v7, v[1:2]
	v_mul_lo_u32 v3, s6, v8
	v_mul_lo_u32 v4, s7, v7
	s_mov_b32 s0, 0xf0f0f10
	v_mul_hi_u32 v5, v0, s0
	v_cmp_gt_u64_e32 vcc, s[10:11], v[7:8]
	v_add3_u32 v2, v4, v2, v3
	v_lshlrev_b64 v[138:139], 4, v[1:2]
	v_mul_u32_u24_e32 v3, 17, v5
	v_sub_u32_e32 v136, v0, v3
                                        ; implicit-def: $vgpr6_vgpr7
                                        ; implicit-def: $vgpr2_vgpr3
	s_and_saveexec_b64 s[4:5], vcc
	s_cbranch_execz .LBB0_12
; %bb.9:
	v_mov_b32_e32 v137, 0
	v_mov_b32_e32 v0, s3
	v_add_co_u32_e64 v54, s[0:1], s2, v138
	v_addc_co_u32_e64 v55, s[0:1], v0, v139, s[0:1]
	v_lshlrev_b64 v[0:1], 4, v[136:137]
                                        ; implicit-def: $vgpr36_vgpr37
                                        ; implicit-def: $vgpr64_vgpr65
                                        ; implicit-def: $vgpr48_vgpr49
                                        ; implicit-def: $vgpr40_vgpr41
                                        ; implicit-def: $vgpr28_vgpr29
                                        ; implicit-def: $vgpr24_vgpr25
                                        ; implicit-def: $vgpr16_vgpr17
                                        ; implicit-def: $vgpr8_vgpr9
                                        ; implicit-def: $vgpr4_vgpr5
                                        ; implicit-def: $vgpr12_vgpr13
                                        ; implicit-def: $vgpr20_vgpr21
                                        ; implicit-def: $vgpr32_vgpr33
                                        ; implicit-def: $vgpr44_vgpr45
                                        ; implicit-def: $vgpr52_vgpr53
                                        ; implicit-def: $vgpr56_vgpr57
                                        ; implicit-def: $vgpr60_vgpr61
	v_add_co_u32_e64 v34, s[0:1], v54, v0
	v_addc_co_u32_e64 v35, s[0:1], v55, v1, s[0:1]
	global_load_dwordx4 v[108:111], v[34:35], off
	global_load_dwordx4 v[132:135], v[34:35], off offset:400
	global_load_dwordx4 v[128:131], v[34:35], off offset:800
	;; [unrolled: 1-line block ×9, first 2 shown]
	s_movk_i32 s0, 0x1000
	v_add_co_u32_e64 v62, s[0:1], s0, v34
	v_addc_co_u32_e64 v63, s[0:1], 0, v35, s[0:1]
	global_load_dwordx4 v[80:83], v[34:35], off offset:4000
	global_load_dwordx4 v[88:91], v[62:63], off offset:304
	;; [unrolled: 1-line block ×7, first 2 shown]
	v_cmp_gt_u32_e64 s[0:1], 8, v136
                                        ; implicit-def: $vgpr0_vgpr1
	s_and_saveexec_b64 s[6:7], s[0:1]
	s_cbranch_execz .LBB0_11
; %bb.10:
	global_load_dwordx4 v[36:39], v[34:35], off offset:272
	global_load_dwordx4 v[64:67], v[34:35], off offset:672
	;; [unrolled: 1-line block ×12, first 2 shown]
                                        ; kill: killed $vgpr34 killed $vgpr35
	s_nop 0
	global_load_dwordx4 v[32:35], v[62:63], off offset:976
	global_load_dwordx4 v[44:47], v[62:63], off offset:1376
	v_or_b32_e32 v52, 0x188, v136
	v_mov_b32_e32 v53, v137
	v_lshlrev_b64 v[52:53], 4, v[52:53]
	v_add_co_u32_e64 v52, s[0:1], v54, v52
	v_addc_co_u32_e64 v53, s[0:1], v55, v53, s[0:1]
	global_load_dwordx4 v[56:59], v[52:53], off
	s_nop 0
	global_load_dwordx4 v[52:55], v[62:63], off offset:1776
	s_nop 0
	global_load_dwordx4 v[60:63], v[62:63], off offset:2576
.LBB0_11:
	s_or_b64 exec, exec, s[6:7]
.LBB0_12:
	s_or_b64 exec, exec, s[4:5]
	s_waitcnt vmcnt(15)
	v_add_f64 v[141:142], v[132:133], v[108:109]
	s_mov_b32 s0, 0xaaaaaaab
	v_mul_hi_u32 v137, v140, s0
	s_waitcnt vmcnt(0)
	v_add_f64 v[145:146], v[134:135], -v[114:115]
	s_mov_b32 s22, 0x5d8e7cdc
	s_mov_b32 s36, 0x2a9d6da3
	v_lshrrev_b32_e32 v137, 1, v137
	v_lshl_add_u32 v137, v137, 1, v137
	v_add_f64 v[141:142], v[128:129], v[141:142]
	v_sub_u32_e32 v137, v140, v137
	s_mov_b32 s40, 0x7c9e640b
	s_mov_b32 s23, 0xbfd71e95
	;; [unrolled: 1-line block ×4, first 2 shown]
	v_add_f64 v[143:144], v[112:113], v[132:133]
	v_add_f64 v[149:150], v[130:131], -v[118:119]
	v_add_f64 v[141:142], v[124:125], v[141:142]
	v_mul_f64 v[151:152], v[145:146], s[22:23]
	v_mul_f64 v[153:154], v[145:146], s[36:37]
	;; [unrolled: 1-line block ×3, first 2 shown]
	s_mov_b32 s10, 0x370991
	s_mov_b32 s12, 0x75d4884
	;; [unrolled: 1-line block ×4, first 2 shown]
	v_add_f64 v[141:142], v[100:101], v[141:142]
	s_mov_b32 s16, 0x923c349f
	s_mov_b32 s20, 0x6c9a05f6
	;; [unrolled: 1-line block ×7, first 2 shown]
	v_add_f64 v[141:142], v[92:93], v[141:142]
	s_mov_b32 s31, 0xbfefdd0d
	s_mov_b32 s17, 0xbfeec746
	;; [unrolled: 1-line block ×5, first 2 shown]
	v_add_f64 v[147:148], v[116:117], v[128:129]
	v_mul_f64 v[157:158], v[145:146], s[30:31]
	v_add_f64 v[141:142], v[84:85], v[141:142]
	v_mul_f64 v[159:160], v[145:146], s[16:17]
	v_mul_f64 v[161:162], v[145:146], s[20:21]
	;; [unrolled: 1-line block ×7, first 2 shown]
	v_add_f64 v[141:142], v[76:77], v[141:142]
	v_fma_f64 v[175:176], v[143:144], s[10:11], v[151:152]
	v_fma_f64 v[151:152], v[143:144], s[10:11], -v[151:152]
	v_fma_f64 v[177:178], v[143:144], s[12:13], v[153:154]
	v_fma_f64 v[179:180], v[143:144], s[4:5], v[155:156]
	v_fma_f64 v[155:156], v[143:144], s[4:5], -v[155:156]
	s_mov_b32 s6, 0x3259b75e
	s_mov_b32 s14, 0xc61f0d01
	v_add_f64 v[140:141], v[68:69], v[141:142]
	s_mov_b32 s18, 0x6ed5f1bb
	s_mov_b32 s24, 0x910ea3b9
	;; [unrolled: 1-line block ×7, first 2 shown]
	v_add_f64 v[140:141], v[72:73], v[140:141]
	s_mov_b32 s29, 0xbfef7484
	s_mov_b32 s49, 0x3fe0d888
	;; [unrolled: 1-line block ×3, first 2 shown]
	v_mul_f64 v[171:172], v[149:150], s[34:35]
	v_mul_f64 v[173:174], v[149:150], s[48:49]
	v_fma_f64 v[153:154], v[143:144], s[12:13], -v[153:154]
	v_fma_f64 v[181:182], v[143:144], s[6:7], v[157:158]
	v_add_f64 v[140:141], v[80:81], v[140:141]
	v_fma_f64 v[157:158], v[143:144], s[6:7], -v[157:158]
	v_fma_f64 v[183:184], v[143:144], s[14:15], v[159:160]
	v_fma_f64 v[159:160], v[143:144], s[14:15], -v[159:160]
	v_fma_f64 v[185:186], v[143:144], s[18:19], v[161:162]
	;; [unrolled: 2-line block ×3, first 2 shown]
	v_fma_f64 v[163:164], v[143:144], s[24:25], -v[163:164]
	v_add_f64 v[140:141], v[88:89], v[140:141]
	v_fma_f64 v[189:190], v[143:144], s[28:29], v[145:146]
	v_fma_f64 v[142:143], v[143:144], s[28:29], -v[145:146]
	v_fma_f64 v[144:145], v[147:148], s[12:13], v[165:166]
	v_fma_f64 v[165:166], v[147:148], s[12:13], -v[165:166]
	v_fma_f64 v[191:192], v[147:148], s[6:7], v[167:168]
	v_fma_f64 v[193:194], v[147:148], s[18:19], v[169:170]
	v_fma_f64 v[169:170], v[147:148], s[18:19], -v[169:170]
	v_add_f64 v[140:141], v[96:97], v[140:141]
	v_add_f64 v[151:152], v[108:109], v[151:152]
	;; [unrolled: 1-line block ×4, first 2 shown]
	s_mov_b32 s47, 0x3feec746
	s_mov_b32 s46, s16
	;; [unrolled: 1-line block ×4, first 2 shown]
	v_add_f64 v[140:141], v[104:105], v[140:141]
	v_fma_f64 v[167:168], v[147:148], s[6:7], -v[167:168]
	v_fma_f64 v[195:196], v[147:148], s[28:29], v[171:172]
	v_fma_f64 v[171:172], v[147:148], s[28:29], -v[171:172]
	v_fma_f64 v[197:198], v[147:148], s[24:25], v[173:174]
	v_add_f64 v[175:176], v[108:109], v[175:176]
	v_add_f64 v[153:154], v[108:109], v[153:154]
	v_add_f64 v[179:180], v[108:109], v[179:180]
	v_add_f64 v[140:141], v[120:121], v[140:141]
	v_add_f64 v[181:182], v[108:109], v[181:182]
	v_add_f64 v[157:158], v[108:109], v[157:158]
	v_add_f64 v[183:184], v[108:109], v[183:184]
	v_add_f64 v[159:160], v[108:109], v[159:160]
	v_add_f64 v[185:186], v[108:109], v[185:186]
	v_add_f64 v[161:162], v[108:109], v[161:162]
	v_add_f64 v[187:188], v[108:109], v[187:188]
	v_add_f64 v[140:141], v[116:117], v[140:141]
	v_add_f64 v[163:164], v[108:109], v[163:164]
	v_add_f64 v[189:190], v[108:109], v[189:190]
	v_add_f64 v[142:143], v[108:109], v[142:143]
	v_add_f64 v[151:152], v[165:166], v[151:152]
	v_add_f64 v[165:166], v[191:192], v[177:178]
	v_add_f64 v[155:156], v[169:170], v[155:156]
	v_mul_f64 v[169:170], v[149:150], s[38:39]
	v_add_f64 v[108:109], v[112:113], v[140:141]
	v_mul_f64 v[140:141], v[149:150], s[46:47]
	v_add_f64 v[177:178], v[126:127], -v[122:123]
	s_mov_b32 s43, 0x3fd71e95
	s_mov_b32 s42, s22
	v_add_f64 v[144:145], v[144:145], v[175:176]
	v_add_f64 v[153:154], v[167:168], v[153:154]
	;; [unrolled: 1-line block ×6, first 2 shown]
	v_fma_f64 v[173:174], v[147:148], s[24:25], -v[173:174]
	v_fma_f64 v[179:180], v[147:148], s[14:15], v[140:141]
	v_fma_f64 v[181:182], v[147:148], s[4:5], v[169:170]
	v_mul_f64 v[149:150], v[149:150], s[42:43]
	v_add_f64 v[183:184], v[120:121], v[124:125]
	v_mul_f64 v[191:192], v[177:178], s[40:41]
	v_fma_f64 v[169:170], v[147:148], s[4:5], -v[169:170]
	v_fma_f64 v[140:141], v[147:148], s[14:15], -v[140:141]
	v_add_f64 v[159:160], v[173:174], v[159:160]
	v_add_f64 v[173:174], v[179:180], v[185:186]
	s_mov_b32 s55, 0x3fc7851a
	v_fma_f64 v[179:180], v[147:148], s[10:11], v[149:150]
	v_fma_f64 v[146:147], v[147:148], s[10:11], -v[149:150]
	v_fma_f64 v[148:149], v[183:184], s[4:5], v[191:192]
	v_add_f64 v[163:164], v[169:170], v[163:164]
	v_mul_f64 v[169:170], v[177:178], s[20:21]
	s_mov_b32 s54, s34
	v_add_f64 v[140:141], v[140:141], v[161:162]
	v_add_f64 v[161:162], v[181:182], v[187:188]
	v_mul_f64 v[181:182], v[177:178], s[54:55]
	v_add_f64 v[142:143], v[146:147], v[142:143]
	v_add_f64 v[144:145], v[148:149], v[144:145]
	v_fma_f64 v[146:147], v[183:184], s[4:5], -v[191:192]
	v_fma_f64 v[148:149], v[183:184], s[18:19], v[169:170]
	v_mul_f64 v[185:186], v[177:178], s[46:47]
	s_mov_b32 s45, 0x3fe58eea
	s_mov_b32 s44, s36
	v_add_f64 v[179:180], v[179:180], v[189:190]
	v_fma_f64 v[169:170], v[183:184], s[18:19], -v[169:170]
	v_fma_f64 v[187:188], v[183:184], s[28:29], v[181:182]
	v_mul_f64 v[189:190], v[177:178], s[44:45]
	v_add_f64 v[146:147], v[146:147], v[151:152]
	v_fma_f64 v[150:151], v[183:184], s[28:29], -v[181:182]
	v_fma_f64 v[181:182], v[183:184], s[14:15], v[185:186]
	v_add_f64 v[148:149], v[148:149], v[165:166]
	v_fma_f64 v[165:166], v[183:184], s[14:15], -v[185:186]
	v_add_f64 v[152:153], v[169:170], v[153:154]
	v_mul_f64 v[185:186], v[177:178], s[22:23]
	v_fma_f64 v[169:170], v[183:184], s[12:13], v[189:190]
	v_add_f64 v[167:168], v[187:188], v[167:168]
	v_add_f64 v[150:151], v[150:151], v[155:156]
	;; [unrolled: 1-line block ×3, first 2 shown]
	v_mul_f64 v[175:176], v[177:178], s[30:31]
	v_fma_f64 v[181:182], v[183:184], s[12:13], -v[189:190]
	v_add_f64 v[156:157], v[165:166], v[157:158]
	v_add_f64 v[165:166], v[102:103], -v[106:107]
	v_add_f64 v[169:170], v[169:170], v[171:172]
	v_fma_f64 v[171:172], v[183:184], s[10:11], v[185:186]
	v_mul_f64 v[177:178], v[177:178], s[26:27]
	v_fma_f64 v[185:186], v[183:184], s[10:11], -v[185:186]
	v_fma_f64 v[187:188], v[183:184], s[6:7], v[175:176]
	v_add_f64 v[158:159], v[181:182], v[159:160]
	v_add_f64 v[181:182], v[104:105], v[100:101]
	v_mul_f64 v[189:190], v[165:166], s[30:31]
	v_fma_f64 v[175:176], v[183:184], s[6:7], -v[175:176]
	v_add_f64 v[171:172], v[171:172], v[173:174]
	v_fma_f64 v[173:174], v[183:184], s[24:25], v[177:178]
	v_add_f64 v[140:141], v[185:186], v[140:141]
	v_add_f64 v[160:161], v[187:188], v[161:162]
	v_fma_f64 v[177:178], v[183:184], s[24:25], -v[177:178]
	v_mul_f64 v[183:184], v[165:166], s[34:35]
	v_fma_f64 v[185:186], v[181:182], s[6:7], v[189:190]
	v_add_f64 v[162:163], v[175:176], v[163:164]
	v_mul_f64 v[175:176], v[165:166], s[46:47]
	v_add_f64 v[173:174], v[173:174], v[179:180]
	v_fma_f64 v[179:180], v[181:182], s[6:7], -v[189:190]
	v_mul_f64 v[187:188], v[165:166], s[42:43]
	v_add_f64 v[142:143], v[177:178], v[142:143]
	v_fma_f64 v[177:178], v[181:182], s[28:29], v[183:184]
	v_add_f64 v[144:145], v[185:186], v[144:145]
	v_fma_f64 v[183:184], v[181:182], s[28:29], -v[183:184]
	v_fma_f64 v[185:186], v[181:182], s[14:15], v[175:176]
	v_fma_f64 v[175:176], v[181:182], s[14:15], -v[175:176]
	v_add_f64 v[146:147], v[179:180], v[146:147]
	v_fma_f64 v[179:180], v[181:182], s[10:11], v[187:188]
	v_mul_f64 v[189:190], v[165:166], s[40:41]
	s_mov_b32 s53, 0x3fe9895b
	s_mov_b32 s52, s20
	v_add_f64 v[148:149], v[177:178], v[148:149]
	v_mul_f64 v[177:178], v[165:166], s[26:27]
	v_add_f64 v[150:151], v[175:176], v[150:151]
	v_fma_f64 v[175:176], v[181:182], s[10:11], -v[187:188]
	v_add_f64 v[152:153], v[183:184], v[152:153]
	v_add_f64 v[154:155], v[179:180], v[154:155]
	v_fma_f64 v[179:180], v[181:182], s[4:5], v[189:190]
	v_fma_f64 v[183:184], v[181:182], s[4:5], -v[189:190]
	v_mul_f64 v[187:188], v[165:166], s[52:53]
	v_add_f64 v[167:168], v[185:186], v[167:168]
	v_fma_f64 v[185:186], v[181:182], s[24:25], v[177:178]
	v_add_f64 v[156:157], v[175:176], v[156:157]
	v_add_f64 v[175:176], v[94:95], -v[98:99]
	v_mul_f64 v[164:165], v[165:166], s[44:45]
	v_add_f64 v[169:170], v[179:180], v[169:170]
	v_add_f64 v[158:159], v[183:184], v[158:159]
	v_fma_f64 v[177:178], v[181:182], s[24:25], -v[177:178]
	v_fma_f64 v[179:180], v[181:182], s[18:19], v[187:188]
	v_fma_f64 v[183:184], v[181:182], s[18:19], -v[187:188]
	v_add_f64 v[187:188], v[96:97], v[92:93]
	v_mul_f64 v[189:190], v[175:176], s[16:17]
	v_add_f64 v[171:172], v[185:186], v[171:172]
	v_fma_f64 v[185:186], v[181:182], s[12:13], v[164:165]
	v_fma_f64 v[164:165], v[181:182], s[12:13], -v[164:165]
	v_add_f64 v[140:141], v[177:178], v[140:141]
	v_mul_f64 v[177:178], v[175:176], s[48:49]
	v_add_f64 v[160:161], v[179:180], v[160:161]
	v_mul_f64 v[179:180], v[175:176], s[44:45]
	v_fma_f64 v[181:182], v[187:188], s[14:15], v[189:190]
	v_add_f64 v[162:163], v[183:184], v[162:163]
	v_add_f64 v[173:174], v[185:186], v[173:174]
	;; [unrolled: 1-line block ×3, first 2 shown]
	v_fma_f64 v[164:165], v[187:188], s[14:15], -v[189:190]
	v_fma_f64 v[183:184], v[187:188], s[24:25], v[177:178]
	v_fma_f64 v[177:178], v[187:188], s[24:25], -v[177:178]
	v_fma_f64 v[185:186], v[187:188], s[12:13], v[179:180]
	v_mul_f64 v[189:190], v[175:176], s[40:41]
	v_fma_f64 v[179:180], v[187:188], s[12:13], -v[179:180]
	v_add_f64 v[144:145], v[181:182], v[144:145]
	v_mul_f64 v[181:182], v[175:176], s[34:35]
	s_mov_b32 s51, 0x3fefdd0d
	s_mov_b32 s50, s30
	v_add_f64 v[146:147], v[164:165], v[146:147]
	v_add_f64 v[148:149], v[183:184], v[148:149]
	;; [unrolled: 1-line block ×4, first 2 shown]
	v_fma_f64 v[166:167], v[187:188], s[4:5], v[189:190]
	v_add_f64 v[150:151], v[179:180], v[150:151]
	v_fma_f64 v[177:178], v[187:188], s[4:5], -v[189:190]
	v_fma_f64 v[179:180], v[187:188], s[28:29], v[181:182]
	v_mul_f64 v[183:184], v[175:176], s[50:51]
	v_fma_f64 v[181:182], v[187:188], s[28:29], -v[181:182]
	v_add_f64 v[185:186], v[88:89], v[84:85]
	v_mul_u32_u24_e32 v137, 0x1a9, v137
	v_add_f64 v[154:155], v[166:167], v[154:155]
	v_mul_f64 v[166:167], v[175:176], s[22:23]
	v_add_f64 v[156:157], v[177:178], v[156:157]
	v_add_f64 v[168:169], v[179:180], v[169:170]
	v_add_f64 v[177:178], v[86:87], -v[90:91]
	v_mul_f64 v[175:176], v[175:176], s[20:21]
	v_fma_f64 v[179:180], v[187:188], s[6:7], v[183:184]
	v_add_f64 v[158:159], v[181:182], v[158:159]
	v_fma_f64 v[181:182], v[187:188], s[6:7], -v[183:184]
	v_fma_f64 v[183:184], v[187:188], s[10:11], v[166:167]
	v_fma_f64 v[166:167], v[187:188], s[10:11], -v[166:167]
	v_cmp_gt_u32_e64 s[0:1], 8, v136
	v_mul_f64 v[189:190], v[177:178], s[20:21]
	v_fma_f64 v[191:192], v[187:188], s[18:19], v[175:176]
	v_add_f64 v[170:171], v[179:180], v[171:172]
	v_fma_f64 v[175:176], v[187:188], s[18:19], -v[175:176]
	v_mul_f64 v[179:180], v[177:178], s[46:47]
	v_add_f64 v[160:161], v[183:184], v[160:161]
	v_add_f64 v[162:163], v[166:167], v[162:163]
	v_mul_f64 v[183:184], v[177:178], s[26:27]
	v_fma_f64 v[166:167], v[185:186], s[18:19], v[189:190]
	v_add_f64 v[172:173], v[191:192], v[173:174]
	v_add_f64 v[140:141], v[181:182], v[140:141]
	;; [unrolled: 1-line block ×3, first 2 shown]
	v_fma_f64 v[174:175], v[185:186], s[18:19], -v[189:190]
	v_fma_f64 v[187:188], v[185:186], s[14:15], v[179:180]
	v_fma_f64 v[179:180], v[185:186], s[14:15], -v[179:180]
	v_mul_f64 v[181:182], v[177:178], s[22:23]
	v_add_f64 v[144:145], v[166:167], v[144:145]
	v_mul_f64 v[166:167], v[177:178], s[50:51]
	v_add_f64 v[146:147], v[174:175], v[146:147]
	v_fma_f64 v[174:175], v[185:186], s[24:25], v[183:184]
	v_add_f64 v[152:153], v[179:180], v[152:153]
	v_fma_f64 v[179:180], v[185:186], s[24:25], -v[183:184]
	v_fma_f64 v[189:190], v[185:186], s[10:11], v[181:182]
	v_fma_f64 v[181:182], v[185:186], s[10:11], -v[181:182]
	v_fma_f64 v[183:184], v[185:186], s[6:7], v[166:167]
	v_fma_f64 v[166:167], v[185:186], s[6:7], -v[166:167]
	v_add_f64 v[148:149], v[187:188], v[148:149]
	v_add_f64 v[154:155], v[174:175], v[154:155]
	v_mul_f64 v[174:175], v[177:178], s[34:35]
	v_add_f64 v[156:157], v[179:180], v[156:157]
	v_add_f64 v[179:180], v[78:79], -v[82:83]
	v_add_f64 v[164:165], v[189:190], v[164:165]
	v_add_f64 v[150:151], v[181:182], v[150:151]
	v_mul_f64 v[181:182], v[177:178], s[36:37]
	v_mul_f64 v[176:177], v[177:178], s[38:39]
	v_add_f64 v[158:159], v[166:167], v[158:159]
	v_fma_f64 v[166:167], v[185:186], s[28:29], v[174:175]
	v_fma_f64 v[174:175], v[185:186], s[28:29], -v[174:175]
	v_add_f64 v[187:188], v[80:81], v[76:77]
	v_mul_f64 v[189:190], v[179:180], s[26:27]
	v_add_f64 v[168:169], v[183:184], v[168:169]
	v_fma_f64 v[183:184], v[185:186], s[12:13], v[181:182]
	v_fma_f64 v[181:182], v[185:186], s[12:13], -v[181:182]
	v_fma_f64 v[191:192], v[185:186], s[4:5], v[176:177]
	v_fma_f64 v[176:177], v[185:186], s[4:5], -v[176:177]
	v_add_f64 v[160:161], v[166:167], v[160:161]
	v_mul_f64 v[166:167], v[179:180], s[38:39]
	v_add_f64 v[162:163], v[174:175], v[162:163]
	v_fma_f64 v[174:175], v[187:188], s[24:25], v[189:190]
	v_add_f64 v[170:171], v[183:184], v[170:171]
	v_add_f64 v[140:141], v[181:182], v[140:141]
	v_mul_f64 v[181:182], v[179:180], s[30:31]
	v_fma_f64 v[183:184], v[187:188], s[24:25], -v[189:190]
	v_add_f64 v[142:143], v[176:177], v[142:143]
	v_mul_f64 v[176:177], v[179:180], s[52:53]
	v_fma_f64 v[185:186], v[187:188], s[4:5], v[166:167]
	v_fma_f64 v[166:167], v[187:188], s[4:5], -v[166:167]
	v_add_f64 v[144:145], v[174:175], v[144:145]
	v_mul_f64 v[174:175], v[179:180], s[22:23]
	v_fma_f64 v[189:190], v[187:188], s[6:7], v[181:182]
	v_add_f64 v[146:147], v[183:184], v[146:147]
	v_fma_f64 v[181:182], v[187:188], s[6:7], -v[181:182]
	v_fma_f64 v[183:184], v[187:188], s[18:19], v[176:177]
	v_add_f64 v[148:149], v[185:186], v[148:149]
	v_add_f64 v[152:153], v[166:167], v[152:153]
	v_fma_f64 v[166:167], v[187:188], s[18:19], -v[176:177]
	v_fma_f64 v[176:177], v[187:188], s[10:11], v[174:175]
	v_mul_f64 v[185:186], v[179:180], s[34:35]
	v_fma_f64 v[174:175], v[187:188], s[10:11], -v[174:175]
	v_add_f64 v[150:151], v[181:182], v[150:151]
	v_mul_f64 v[181:182], v[179:180], s[44:45]
	v_add_f64 v[154:155], v[183:184], v[154:155]
	v_mul_f64 v[178:179], v[179:180], s[16:17]
	v_add_f64 v[156:157], v[166:167], v[156:157]
	v_add_f64 v[166:167], v[176:177], v[168:169]
	v_add_f64 v[168:169], v[70:71], -v[74:75]
	v_fma_f64 v[176:177], v[187:188], s[28:29], v[185:186]
	v_fma_f64 v[183:184], v[187:188], s[28:29], -v[185:186]
	v_add_f64 v[164:165], v[189:190], v[164:165]
	v_add_f64 v[158:159], v[174:175], v[158:159]
	v_fma_f64 v[174:175], v[187:188], s[12:13], v[181:182]
	v_fma_f64 v[180:181], v[187:188], s[12:13], -v[181:182]
	v_add_f64 v[185:186], v[72:73], v[68:69]
	v_mul_f64 v[189:190], v[168:169], s[34:35]
	v_add_f64 v[172:173], v[191:192], v[172:173]
	v_add_f64 v[170:171], v[176:177], v[170:171]
	;; [unrolled: 1-line block ×3, first 2 shown]
	v_fma_f64 v[176:177], v[187:188], s[14:15], v[178:179]
	v_mul_f64 v[182:183], v[168:169], s[42:43]
	v_add_f64 v[160:161], v[174:175], v[160:161]
	v_add_f64 v[162:163], v[180:181], v[162:163]
	v_fma_f64 v[174:175], v[187:188], s[14:15], -v[178:179]
	v_fma_f64 v[178:179], v[185:186], s[28:29], v[189:190]
	v_mul_f64 v[180:181], v[168:169], s[26:27]
	v_fma_f64 v[187:188], v[185:186], s[28:29], -v[189:190]
	v_add_f64 v[172:173], v[176:177], v[172:173]
	v_fma_f64 v[176:177], v[185:186], s[10:11], v[182:183]
	v_mul_f64 v[189:190], v[168:169], s[44:45]
	v_fma_f64 v[182:183], v[185:186], s[10:11], -v[182:183]
	v_add_f64 v[142:143], v[174:175], v[142:143]
	v_add_f64 v[144:145], v[178:179], v[144:145]
	v_fma_f64 v[174:175], v[185:186], s[24:25], v[180:181]
	v_fma_f64 v[178:179], v[185:186], s[24:25], -v[180:181]
	v_add_f64 v[146:147], v[187:188], v[146:147]
	v_add_f64 v[148:149], v[176:177], v[148:149]
	v_fma_f64 v[176:177], v[185:186], s[12:13], v[189:190]
	v_add_f64 v[152:153], v[182:183], v[152:153]
	v_mul_f64 v[182:183], v[168:169], s[20:21]
	v_fma_f64 v[180:181], v[185:186], s[12:13], -v[189:190]
	v_add_f64 v[164:165], v[174:175], v[164:165]
	v_mul_f64 v[174:175], v[168:169], s[38:39]
	v_add_f64 v[150:151], v[178:179], v[150:151]
	v_mul_f64 v[178:179], v[168:169], s[16:17]
	v_mul_f64 v[168:169], v[168:169], s[50:51]
	v_add_f64 v[154:155], v[176:177], v[154:155]
	v_fma_f64 v[176:177], v[185:186], s[18:19], v[182:183]
	v_add_f64 v[156:157], v[180:181], v[156:157]
	v_fma_f64 v[180:181], v[185:186], s[18:19], -v[182:183]
	v_fma_f64 v[182:183], v[185:186], s[4:5], v[174:175]
	v_fma_f64 v[174:175], v[185:186], s[4:5], -v[174:175]
	v_fma_f64 v[187:188], v[185:186], s[14:15], v[178:179]
	v_fma_f64 v[189:190], v[185:186], s[6:7], v[168:169]
	v_fma_f64 v[168:169], v[185:186], s[6:7], -v[168:169]
	v_fma_f64 v[178:179], v[185:186], s[14:15], -v[178:179]
	v_add_f64 v[166:167], v[176:177], v[166:167]
	v_add_f64 v[158:159], v[180:181], v[158:159]
	;; [unrolled: 1-line block ×8, first 2 shown]
	v_mul_u32_u24_e32 v168, 0x88, v136
	v_lshlrev_b32_e32 v174, 3, v137
	v_add3_u32 v175, 0, v168, v174
	v_add_u32_e32 v137, 17, v136
	ds_write2_b64 v175, v[108:109], v[144:145] offset1:1
	ds_write2_b64 v175, v[148:149], v[164:165] offset0:2 offset1:3
	ds_write2_b64 v175, v[154:155], v[166:167] offset0:4 offset1:5
	;; [unrolled: 1-line block ×7, first 2 shown]
	ds_write_b64 v175, v[146:147] offset:128
	s_and_saveexec_b64 s[56:57], s[0:1]
	s_cbranch_execz .LBB0_14
; %bb.13:
	v_add_f64 v[164:165], v[60:61], v[64:65]
	v_add_f64 v[158:159], v[56:57], v[48:49]
	v_add_f64 v[156:157], v[66:67], -v[62:63]
	v_add_f64 v[162:163], v[52:53], v[40:41]
	v_add_f64 v[154:155], v[50:51], -v[58:59]
	;; [unrolled: 2-line block ×3, first 2 shown]
	v_add_f64 v[152:153], v[32:33], v[24:25]
	v_mul_f64 v[160:161], v[164:165], s[28:29]
	v_mul_f64 v[170:171], v[158:159], s[10:11]
	;; [unrolled: 1-line block ×6, first 2 shown]
	v_add_f64 v[150:151], v[20:21], v[16:17]
	v_add_f64 v[148:149], v[26:27], -v[34:35]
	v_fma_f64 v[172:173], v[156:157], s[54:55], v[160:161]
	v_fma_f64 v[176:177], v[156:157], s[34:35], v[160:161]
	;; [unrolled: 1-line block ×4, first 2 shown]
	v_add_f64 v[160:161], v[30:31], -v[46:47]
	v_fma_f64 v[190:191], v[166:167], s[48:49], v[178:179]
	v_fma_f64 v[178:179], v[166:167], s[26:27], v[178:179]
	;; [unrolled: 1-line block ×3, first 2 shown]
	v_add_f64 v[172:173], v[36:37], v[172:173]
	v_add_f64 v[176:177], v[36:37], v[176:177]
	v_fma_f64 v[198:199], v[154:155], s[40:41], v[192:193]
	v_add_f64 v[146:147], v[12:13], v[8:9]
	v_fma_f64 v[196:197], v[160:161], s[36:37], v[186:187]
	v_fma_f64 v[186:187], v[160:161], s[44:45], v[186:187]
	v_add_f64 v[144:145], v[18:19], -v[22:23]
	v_add_f64 v[194:195], v[36:37], v[194:195]
	v_add_f64 v[172:173], v[180:181], v[172:173]
	;; [unrolled: 1-line block ×3, first 2 shown]
	v_mul_f64 v[180:181], v[152:153], s[18:19]
	v_mul_f64 v[176:177], v[150:151], s[4:5]
	v_add_f64 v[142:143], v[4:5], v[0:1]
	v_add_f64 v[140:141], v[10:11], -v[14:15]
	v_mul_f64 v[184:185], v[146:147], s[14:15]
	v_add_f64 v[194:195], v[198:199], v[194:195]
	v_add_f64 v[172:173], v[190:191], v[172:173]
	;; [unrolled: 1-line block ×3, first 2 shown]
	v_mul_f64 v[190:191], v[162:163], s[6:7]
	v_fma_f64 v[200:201], v[148:149], s[52:53], v[180:181]
	v_fma_f64 v[180:181], v[148:149], s[20:21], v[180:181]
	v_fma_f64 v[198:199], v[144:145], s[40:41], v[176:177]
	v_fma_f64 v[176:177], v[144:145], s[38:39], v[176:177]
	v_add_f64 v[108:109], v[2:3], -v[6:7]
	v_add_f64 v[172:173], v[196:197], v[172:173]
	v_add_f64 v[170:171], v[186:187], v[170:171]
	v_mul_f64 v[196:197], v[168:169], s[18:19]
	v_fma_f64 v[202:203], v[166:167], s[50:51], v[190:191]
	v_mul_f64 v[182:183], v[142:143], s[6:7]
	v_mul_f64 v[186:187], v[146:147], s[12:13]
	v_fma_f64 v[188:189], v[156:157], s[26:27], v[188:189]
	v_mul_f64 v[178:179], v[142:143], s[14:15]
	v_add_f64 v[172:173], v[200:201], v[172:173]
	v_add_f64 v[170:171], v[180:181], v[170:171]
	v_mul_f64 v[200:201], v[152:153], s[10:11]
	v_fma_f64 v[204:205], v[160:161], s[20:21], v[196:197]
	v_add_f64 v[194:195], v[202:203], v[194:195]
	v_mul_f64 v[180:181], v[150:151], s[28:29]
	v_fma_f64 v[202:203], v[140:141], s[46:47], v[184:185]
	v_fma_f64 v[184:185], v[140:141], s[16:17], v[184:185]
	v_add_f64 v[172:173], v[198:199], v[172:173]
	v_add_f64 v[170:171], v[176:177], v[170:171]
	v_mul_f64 v[198:199], v[164:165], s[18:19]
	v_fma_f64 v[206:207], v[148:149], s[42:43], v[200:201]
	v_add_f64 v[194:195], v[204:205], v[194:195]
	v_mul_f64 v[176:177], v[158:159], s[14:15]
	v_fma_f64 v[204:205], v[108:109], s[30:31], v[182:183]
	v_fma_f64 v[182:183], v[108:109], s[50:51], v[182:183]
	v_add_f64 v[172:173], v[202:203], v[172:173]
	v_add_f64 v[184:185], v[184:185], v[170:171]
	v_fma_f64 v[208:209], v[144:145], s[54:55], v[180:181]
	v_fma_f64 v[210:211], v[156:157], s[52:53], v[198:199]
	v_add_f64 v[194:195], v[206:207], v[194:195]
	v_fma_f64 v[206:207], v[140:141], s[36:37], v[186:187]
	v_add_f64 v[188:189], v[36:37], v[188:189]
	;; [unrolled: 2-line block ×3, first 2 shown]
	v_add_f64 v[172:173], v[182:183], v[184:185]
	v_fma_f64 v[182:183], v[154:155], s[38:39], v[192:193]
	v_fma_f64 v[184:185], v[156:157], s[20:21], v[198:199]
	v_add_f64 v[192:193], v[208:209], v[194:195]
	v_mul_f64 v[194:195], v[162:163], s[10:11]
	v_fma_f64 v[198:199], v[154:155], s[16:17], v[176:177]
	v_add_f64 v[204:205], v[36:37], v[210:211]
	v_fma_f64 v[190:191], v[166:167], s[30:31], v[190:191]
	v_fma_f64 v[176:177], v[154:155], s[46:47], v[176:177]
	v_add_f64 v[182:183], v[182:183], v[188:189]
	v_add_f64 v[184:185], v[36:37], v[184:185]
	;; [unrolled: 1-line block ×3, first 2 shown]
	v_fma_f64 v[192:193], v[160:161], s[52:53], v[196:197]
	v_mul_f64 v[196:197], v[168:169], s[24:25]
	v_fma_f64 v[206:207], v[166:167], s[42:43], v[194:195]
	v_add_f64 v[198:199], v[198:199], v[204:205]
	v_fma_f64 v[194:195], v[166:167], s[22:23], v[194:195]
	v_add_f64 v[182:183], v[190:191], v[182:183]
	v_add_f64 v[176:177], v[176:177], v[184:185]
	;; [unrolled: 1-line block ×3, first 2 shown]
	v_fma_f64 v[188:189], v[148:149], s[22:23], v[200:201]
	v_mul_f64 v[190:191], v[152:153], s[6:7]
	v_fma_f64 v[200:201], v[160:161], s[48:49], v[196:197]
	v_add_f64 v[198:199], v[206:207], v[198:199]
	v_fma_f64 v[196:197], v[160:161], s[26:27], v[196:197]
	v_add_f64 v[182:183], v[192:193], v[182:183]
	v_add_f64 v[176:177], v[194:195], v[176:177]
	v_mul_f64 v[192:193], v[150:151], s[12:13]
	v_fma_f64 v[180:181], v[144:145], s[34:35], v[180:181]
	v_fma_f64 v[194:195], v[148:149], s[30:31], v[190:191]
	;; [unrolled: 1-line block ×3, first 2 shown]
	v_add_f64 v[198:199], v[200:201], v[198:199]
	v_fma_f64 v[186:187], v[140:141], s[44:45], v[186:187]
	v_add_f64 v[182:183], v[188:189], v[182:183]
	v_add_f64 v[176:177], v[196:197], v[176:177]
	v_mul_f64 v[188:189], v[146:147], s[28:29]
	v_mul_f64 v[196:197], v[164:165], s[14:15]
	v_fma_f64 v[200:201], v[144:145], s[44:45], v[192:193]
	v_fma_f64 v[192:193], v[144:145], s[36:37], v[192:193]
	v_add_f64 v[194:195], v[194:195], v[198:199]
	v_fma_f64 v[178:179], v[108:109], s[16:17], v[178:179]
	v_add_f64 v[180:181], v[180:181], v[182:183]
	v_add_f64 v[176:177], v[190:191], v[176:177]
	v_mul_f64 v[182:183], v[142:143], s[4:5]
	v_mul_f64 v[190:191], v[158:159], s[24:25]
	v_fma_f64 v[198:199], v[156:157], s[46:47], v[196:197]
	v_fma_f64 v[202:203], v[140:141], s[54:55], v[188:189]
	v_add_f64 v[194:195], v[200:201], v[194:195]
	v_fma_f64 v[188:189], v[140:141], s[34:35], v[188:189]
	v_add_f64 v[180:181], v[186:187], v[180:181]
	v_add_f64 v[176:177], v[192:193], v[176:177]
	v_mul_f64 v[186:187], v[162:163], s[12:13]
	v_fma_f64 v[192:193], v[154:155], s[26:27], v[190:191]
	v_add_f64 v[198:199], v[36:37], v[198:199]
	v_fma_f64 v[200:201], v[108:109], s[40:41], v[182:183]
	v_add_f64 v[194:195], v[202:203], v[194:195]
	;; [unrolled: 2-line block ×3, first 2 shown]
	v_add_f64 v[176:177], v[188:189], v[176:177]
	v_mul_f64 v[180:181], v[168:169], s[4:5]
	v_fma_f64 v[188:189], v[166:167], s[36:37], v[186:187]
	v_add_f64 v[192:193], v[192:193], v[198:199]
	v_fma_f64 v[196:197], v[156:157], s[16:17], v[196:197]
	v_add_f64 v[194:195], v[200:201], v[194:195]
	v_mul_f64 v[200:201], v[164:165], s[6:7]
	v_mul_f64 v[204:205], v[158:159], s[28:29]
	v_add_f64 v[176:177], v[182:183], v[176:177]
	v_mul_f64 v[182:183], v[152:153], s[28:29]
	v_fma_f64 v[202:203], v[160:161], s[38:39], v[180:181]
	v_add_f64 v[188:189], v[188:189], v[192:193]
	v_fma_f64 v[190:191], v[154:155], s[48:49], v[190:191]
	v_add_f64 v[196:197], v[36:37], v[196:197]
	v_fma_f64 v[206:207], v[156:157], s[50:51], v[200:201]
	v_mul_f64 v[208:209], v[150:151], s[6:7]
	v_fma_f64 v[212:213], v[154:155], s[54:55], v[204:205]
	v_fma_f64 v[210:211], v[148:149], s[54:55], v[182:183]
	;; [unrolled: 1-line block ×3, first 2 shown]
	v_add_f64 v[188:189], v[202:203], v[188:189]
	v_mul_f64 v[202:203], v[162:163], s[14:15]
	v_add_f64 v[190:191], v[190:191], v[196:197]
	v_add_f64 v[206:207], v[36:37], v[206:207]
	v_mul_f64 v[214:215], v[146:147], s[10:11]
	v_fma_f64 v[216:217], v[144:145], s[30:31], v[208:209]
	v_mul_f64 v[196:197], v[168:169], s[10:11]
	v_fma_f64 v[200:201], v[156:157], s[30:31], v[200:201]
	v_add_f64 v[188:189], v[210:211], v[188:189]
	v_fma_f64 v[210:211], v[166:167], s[16:17], v[202:203]
	v_fma_f64 v[180:181], v[160:161], s[40:41], v[180:181]
	v_add_f64 v[206:207], v[212:213], v[206:207]
	v_add_f64 v[186:187], v[186:187], v[190:191]
	v_mul_f64 v[198:199], v[142:143], s[18:19]
	v_fma_f64 v[212:213], v[140:141], s[42:43], v[214:215]
	v_mul_f64 v[190:191], v[152:153], s[4:5]
	v_add_f64 v[188:189], v[216:217], v[188:189]
	v_fma_f64 v[216:217], v[160:161], s[22:23], v[196:197]
	v_fma_f64 v[204:205], v[154:155], s[34:35], v[204:205]
	v_add_f64 v[206:207], v[210:211], v[206:207]
	v_add_f64 v[200:201], v[36:37], v[200:201]
	v_fma_f64 v[182:183], v[148:149], s[34:35], v[182:183]
	v_add_f64 v[180:181], v[180:181], v[186:187]
	v_fma_f64 v[192:193], v[108:109], s[52:53], v[198:199]
	v_add_f64 v[186:187], v[212:213], v[188:189]
	v_mul_f64 v[188:189], v[150:151], s[24:25]
	v_fma_f64 v[210:211], v[148:149], s[38:39], v[190:191]
	v_add_f64 v[206:207], v[216:217], v[206:207]
	v_fma_f64 v[202:203], v[166:167], s[46:47], v[202:203]
	v_add_f64 v[200:201], v[204:205], v[200:201]
	;; [unrolled: 2-line block ×3, first 2 shown]
	v_add_f64 v[182:183], v[192:193], v[186:187]
	v_mul_f64 v[186:187], v[146:147], s[18:19]
	v_fma_f64 v[192:193], v[144:145], s[48:49], v[188:189]
	v_add_f64 v[206:207], v[210:211], v[206:207]
	v_fma_f64 v[196:197], v[160:161], s[42:43], v[196:197]
	v_add_f64 v[200:201], v[202:203], v[200:201]
	;; [unrolled: 2-line block ×3, first 2 shown]
	v_mul_f64 v[204:205], v[164:165], s[4:5]
	v_mul_f64 v[208:209], v[142:143], s[12:13]
	v_fma_f64 v[210:211], v[140:141], s[20:21], v[186:187]
	v_add_f64 v[192:193], v[192:193], v[206:207]
	v_fma_f64 v[190:191], v[148:149], s[40:41], v[190:191]
	v_add_f64 v[196:197], v[196:197], v[200:201]
	v_fma_f64 v[198:199], v[108:109], s[20:21], v[198:199]
	v_mul_f64 v[200:201], v[158:159], s[18:19]
	v_fma_f64 v[206:207], v[156:157], s[38:39], v[204:205]
	v_add_f64 v[180:181], v[202:203], v[180:181]
	v_fma_f64 v[202:203], v[108:109], s[36:37], v[208:209]
	v_add_f64 v[192:193], v[210:211], v[192:193]
	;; [unrolled: 2-line block ×3, first 2 shown]
	v_mul_f64 v[196:197], v[162:163], s[28:29]
	v_fma_f64 v[210:211], v[154:155], s[52:53], v[200:201]
	v_add_f64 v[206:207], v[36:37], v[206:207]
	v_add_f64 v[180:181], v[198:199], v[180:181]
	v_fma_f64 v[198:199], v[156:157], s[40:41], v[204:205]
	v_add_f64 v[192:193], v[202:203], v[192:193]
	v_fma_f64 v[200:201], v[154:155], s[20:21], v[200:201]
	v_fma_f64 v[186:187], v[140:141], s[52:53], v[186:187]
	;; [unrolled: 1-line block ×3, first 2 shown]
	v_add_f64 v[188:189], v[188:189], v[190:191]
	v_add_f64 v[204:205], v[210:211], v[206:207]
	v_fma_f64 v[206:207], v[108:109], s[44:45], v[208:209]
	v_add_f64 v[198:199], v[36:37], v[198:199]
	v_add_f64 v[208:209], v[64:65], v[36:37]
	v_mul_f64 v[190:191], v[168:169], s[14:15]
	v_fma_f64 v[196:197], v[166:167], s[54:55], v[196:197]
	v_mul_f64 v[212:213], v[164:165], s[12:13]
	v_add_f64 v[186:187], v[186:187], v[188:189]
	v_add_f64 v[202:203], v[202:203], v[204:205]
	v_mul_f64 v[188:189], v[152:153], s[12:13]
	v_add_f64 v[198:199], v[200:201], v[198:199]
	v_add_f64 v[204:205], v[48:49], v[208:209]
	v_fma_f64 v[210:211], v[160:161], s[16:17], v[190:191]
	v_fma_f64 v[190:191], v[160:161], s[46:47], v[190:191]
	v_mul_f64 v[208:209], v[150:151], s[10:11]
	v_fma_f64 v[216:217], v[156:157], s[44:45], v[212:213]
	v_mul_f64 v[164:165], v[164:165], s[10:11]
	v_fma_f64 v[214:215], v[148:149], s[36:37], v[188:189]
	v_add_f64 v[196:197], v[196:197], v[198:199]
	v_add_f64 v[204:205], v[40:41], v[204:205]
	;; [unrolled: 1-line block ×3, first 2 shown]
	v_mul_f64 v[210:211], v[158:159], s[6:7]
	v_fma_f64 v[188:189], v[148:149], s[44:45], v[188:189]
	v_mul_f64 v[198:199], v[146:147], s[6:7]
	v_fma_f64 v[218:219], v[144:145], s[42:43], v[208:209]
	v_add_f64 v[216:217], v[36:37], v[216:217]
	v_add_f64 v[190:191], v[190:191], v[196:197]
	;; [unrolled: 1-line block ×4, first 2 shown]
	v_mul_f64 v[196:197], v[162:163], s[18:19]
	v_fma_f64 v[214:215], v[154:155], s[50:51], v[210:211]
	v_fma_f64 v[208:209], v[144:145], s[22:23], v[208:209]
	;; [unrolled: 1-line block ×4, first 2 shown]
	v_add_f64 v[188:189], v[188:189], v[190:191]
	v_add_f64 v[204:205], v[24:25], v[204:205]
	;; [unrolled: 1-line block ×3, first 2 shown]
	v_mul_f64 v[190:191], v[168:169], s[28:29]
	v_fma_f64 v[218:219], v[166:167], s[52:53], v[196:197]
	v_add_f64 v[214:215], v[214:215], v[216:217]
	v_mul_f64 v[158:159], v[158:159], s[12:13]
	v_fma_f64 v[228:229], v[156:157], s[22:23], v[164:165]
	v_add_f64 v[188:189], v[208:209], v[188:189]
	v_add_f64 v[204:205], v[16:17], v[204:205]
	;; [unrolled: 1-line block ×3, first 2 shown]
	v_mul_f64 v[208:209], v[152:153], s[24:25]
	v_fma_f64 v[220:221], v[160:161], s[54:55], v[190:191]
	v_add_f64 v[214:215], v[218:219], v[214:215]
	v_fma_f64 v[212:213], v[156:157], s[36:37], v[212:213]
	v_fma_f64 v[156:157], v[156:157], s[42:43], v[164:165]
	v_add_f64 v[188:189], v[198:199], v[188:189]
	v_add_f64 v[198:199], v[8:9], v[204:205]
	v_mul_f64 v[162:163], v[162:163], s[4:5]
	v_fma_f64 v[204:205], v[148:149], s[26:27], v[208:209]
	v_fma_f64 v[164:165], v[154:155], s[36:37], v[158:159]
	v_add_f64 v[214:215], v[220:221], v[214:215]
	v_fma_f64 v[210:211], v[154:155], s[30:31], v[210:211]
	v_add_f64 v[212:213], v[36:37], v[212:213]
	;; [unrolled: 2-line block ×3, first 2 shown]
	v_mul_f64 v[168:169], v[168:169], s[6:7]
	v_fma_f64 v[196:197], v[166:167], s[20:21], v[196:197]
	v_mul_f64 v[152:153], v[152:153], s[14:15]
	v_add_f64 v[204:205], v[204:205], v[214:215]
	v_add_f64 v[214:215], v[36:37], v[228:229]
	;; [unrolled: 1-line block ×3, first 2 shown]
	v_fma_f64 v[156:157], v[166:167], s[40:41], v[162:163]
	v_add_f64 v[198:199], v[4:5], v[198:199]
	v_fma_f64 v[162:163], v[166:167], s[38:39], v[162:163]
	v_fma_f64 v[190:191], v[160:161], s[34:35], v[190:191]
	v_mul_f64 v[222:223], v[150:151], s[14:15]
	v_mul_f64 v[150:151], v[150:151], s[18:19]
	v_add_f64 v[158:159], v[164:165], v[214:215]
	v_add_f64 v[36:37], v[154:155], v[36:37]
	v_fma_f64 v[154:155], v[160:161], s[30:31], v[168:169]
	v_add_f64 v[164:165], v[12:13], v[198:199]
	v_add_f64 v[198:199], v[210:211], v[212:213]
	v_fma_f64 v[160:161], v[160:161], s[50:51], v[168:169]
	v_fma_f64 v[166:167], v[148:149], s[48:49], v[208:209]
	v_mul_f64 v[218:219], v[146:147], s[4:5]
	v_add_f64 v[156:157], v[156:157], v[158:159]
	v_add_f64 v[36:37], v[162:163], v[36:37]
	v_fma_f64 v[162:163], v[148:149], s[16:17], v[152:153]
	v_add_f64 v[158:159], v[20:21], v[164:165]
	v_add_f64 v[164:165], v[196:197], v[198:199]
	v_fma_f64 v[148:149], v[148:149], s[46:47], v[152:153]
	v_mul_f64 v[146:147], v[146:147], s[24:25]
	v_fma_f64 v[152:153], v[144:145], s[20:21], v[150:151]
	v_add_f64 v[154:155], v[154:155], v[156:157]
	v_add_f64 v[36:37], v[160:161], v[36:37]
	v_fma_f64 v[226:227], v[144:145], s[16:17], v[222:223]
	v_add_f64 v[156:157], v[32:33], v[158:159]
	v_add_f64 v[158:159], v[190:191], v[164:165]
	v_fma_f64 v[164:165], v[144:145], s[46:47], v[222:223]
	v_fma_f64 v[144:145], v[144:145], s[52:53], v[150:151]
	v_mul_f64 v[200:201], v[142:143], s[24:25]
	v_add_f64 v[154:155], v[162:163], v[154:155]
	v_add_f64 v[36:37], v[148:149], v[36:37]
	v_mul_f64 v[220:221], v[142:143], s[10:11]
	v_add_f64 v[156:157], v[44:45], v[156:157]
	v_add_f64 v[158:159], v[166:167], v[158:159]
	v_mul_f64 v[142:143], v[142:143], s[28:29]
	v_fma_f64 v[148:149], v[140:141], s[26:27], v[146:147]
	v_fma_f64 v[160:161], v[140:141], s[38:39], v[218:219]
	v_add_f64 v[150:151], v[152:153], v[154:155]
	v_fma_f64 v[224:225], v[140:141], s[40:41], v[218:219]
	v_fma_f64 v[140:141], v[140:141], s[48:49], v[146:147]
	v_add_f64 v[152:153], v[52:53], v[156:157]
	v_add_f64 v[154:155], v[164:165], v[158:159]
	;; [unrolled: 1-line block ×4, first 2 shown]
	v_fma_f64 v[144:145], v[108:109], s[34:35], v[142:143]
	v_add_f64 v[146:147], v[148:149], v[150:151]
	v_fma_f64 v[216:217], v[108:109], s[48:49], v[200:201]
	v_fma_f64 v[200:201], v[108:109], s[26:27], v[200:201]
	v_add_f64 v[148:149], v[56:57], v[152:153]
	v_fma_f64 v[158:159], v[108:109], s[42:43], v[220:221]
	v_add_f64 v[150:151], v[160:161], v[154:155]
	v_fma_f64 v[152:153], v[108:109], s[22:23], v[220:221]
	v_fma_f64 v[108:109], v[108:109], s[54:55], v[142:143]
	v_add_f64 v[36:37], v[140:141], v[36:37]
	v_add_f64 v[154:155], v[224:225], v[156:157]
	;; [unrolled: 1-line block ×9, first 2 shown]
	v_mul_u32_u24_e32 v108, 0x88, v137
	v_add_f64 v[152:153], v[152:153], v[154:155]
	v_add3_u32 v108, 0, v108, v174
	ds_write2_b64 v108, v[144:145], v[142:143] offset1:1
	ds_write2_b64 v108, v[146:147], v[140:141] offset0:2 offset1:3
	ds_write2_b64 v108, v[148:149], v[180:181] offset0:4 offset1:5
	;; [unrolled: 1-line block ×7, first 2 shown]
	ds_write_b64 v108, v[36:37] offset:128
.LBB0_14:
	s_or_b64 exec, exec, s[56:57]
	v_add_f64 v[36:37], v[134:135], v[110:111]
	v_add_f64 v[108:109], v[132:133], -v[112:113]
	v_add_f64 v[112:113], v[114:115], v[134:135]
	v_add_f64 v[132:133], v[118:119], v[130:131]
	v_add_f64 v[116:117], v[128:129], -v[116:117]
	v_add_f64 v[120:121], v[124:125], -v[120:121]
	v_add_f64 v[128:129], v[122:123], v[126:127]
	v_add_f64 v[100:101], v[100:101], -v[104:105]
	v_add_f64 v[36:37], v[130:131], v[36:37]
	v_mul_f64 v[124:125], v[108:109], s[22:23]
	v_mul_f64 v[130:131], v[108:109], s[36:37]
	;; [unrolled: 1-line block ×7, first 2 shown]
	v_add_f64 v[36:37], v[126:127], v[36:37]
	v_mul_f64 v[108:109], v[108:109], s[34:35]
	v_mul_f64 v[126:127], v[116:117], s[36:37]
	;; [unrolled: 1-line block ×5, first 2 shown]
	v_fma_f64 v[170:171], v[112:113], s[10:11], -v[124:125]
	v_fma_f64 v[124:125], v[112:113], s[10:11], v[124:125]
	v_add_f64 v[36:37], v[102:103], v[36:37]
	v_fma_f64 v[172:173], v[112:113], s[12:13], -v[130:131]
	v_fma_f64 v[130:131], v[112:113], s[12:13], v[130:131]
	v_fma_f64 v[176:177], v[112:113], s[4:5], -v[134:135]
	v_fma_f64 v[134:135], v[112:113], s[4:5], v[134:135]
	v_fma_f64 v[178:179], v[112:113], s[6:7], -v[140:141]
	v_mul_f64 v[154:155], v[116:117], s[48:49]
	v_mul_f64 v[156:157], v[116:117], s[46:47]
	v_add_f64 v[36:37], v[94:95], v[36:37]
	v_mul_f64 v[158:159], v[116:117], s[38:39]
	v_mul_f64 v[116:117], v[116:117], s[42:43]
	;; [unrolled: 1-line block ×6, first 2 shown]
	v_fma_f64 v[140:141], v[112:113], s[6:7], v[140:141]
	v_add_f64 v[36:37], v[86:87], v[36:37]
	v_fma_f64 v[180:181], v[112:113], s[14:15], -v[142:143]
	v_fma_f64 v[142:143], v[112:113], s[14:15], v[142:143]
	v_fma_f64 v[182:183], v[112:113], s[18:19], -v[144:145]
	v_fma_f64 v[144:145], v[112:113], s[18:19], v[144:145]
	;; [unrolled: 2-line block ×3, first 2 shown]
	v_fma_f64 v[186:187], v[112:113], s[28:29], -v[108:109]
	v_add_f64 v[36:37], v[78:79], v[36:37]
	v_fma_f64 v[108:109], v[112:113], s[28:29], v[108:109]
	v_fma_f64 v[112:113], v[132:133], s[12:13], -v[126:127]
	v_fma_f64 v[126:127], v[132:133], s[12:13], v[126:127]
	v_fma_f64 v[188:189], v[132:133], s[6:7], -v[148:149]
	;; [unrolled: 2-line block ×3, first 2 shown]
	v_fma_f64 v[150:151], v[132:133], s[18:19], v[150:151]
	v_add_f64 v[36:37], v[70:71], v[36:37]
	v_fma_f64 v[192:193], v[132:133], s[28:29], -v[152:153]
	v_add_f64 v[170:171], v[110:111], v[170:171]
	v_add_f64 v[124:125], v[110:111], v[124:125]
	;; [unrolled: 1-line block ×8, first 2 shown]
	v_mul_f64 v[168:169], v[120:121], s[44:45]
	v_fma_f64 v[152:153], v[132:133], s[28:29], v[152:153]
	v_fma_f64 v[194:195], v[132:133], s[24:25], -v[154:155]
	v_fma_f64 v[154:155], v[132:133], s[24:25], v[154:155]
	v_fma_f64 v[196:197], v[132:133], s[14:15], -v[156:157]
	v_fma_f64 v[156:157], v[132:133], s[14:15], v[156:157]
	v_add_f64 v[36:37], v[82:83], v[36:37]
	v_fma_f64 v[198:199], v[132:133], s[4:5], -v[158:159]
	v_fma_f64 v[158:159], v[132:133], s[4:5], v[158:159]
	v_fma_f64 v[200:201], v[132:133], s[10:11], -v[116:117]
	v_fma_f64 v[116:117], v[132:133], s[10:11], v[116:117]
	v_fma_f64 v[132:133], v[128:129], s[4:5], -v[160:161]
	v_fma_f64 v[202:203], v[128:129], s[18:19], -v[162:163]
	v_fma_f64 v[162:163], v[128:129], s[18:19], v[162:163]
	v_add_f64 v[36:37], v[90:91], v[36:37]
	v_fma_f64 v[204:205], v[128:129], s[28:29], -v[164:165]
	v_fma_f64 v[164:165], v[128:129], s[28:29], v[164:165]
	v_fma_f64 v[206:207], v[128:129], s[14:15], -v[166:167]
	v_add_f64 v[140:141], v[110:111], v[140:141]
	v_add_f64 v[180:181], v[110:111], v[180:181]
	v_add_f64 v[142:143], v[110:111], v[142:143]
	v_add_f64 v[182:183], v[110:111], v[182:183]
	v_add_f64 v[36:37], v[98:99], v[36:37]
	v_add_f64 v[144:145], v[110:111], v[144:145]
	v_add_f64 v[184:185], v[110:111], v[184:185]
	v_add_f64 v[146:147], v[110:111], v[146:147]
	v_add_f64 v[186:187], v[110:111], v[186:187]
	v_add_f64 v[108:109], v[110:111], v[108:109]
	v_add_f64 v[110:111], v[112:113], v[170:171]
	v_add_f64 v[112:113], v[126:127], v[124:125]
	v_add_f64 v[36:37], v[106:107], v[36:37]
	v_add_f64 v[124:125], v[188:189], v[172:173]
	v_add_f64 v[126:127], v[148:149], v[130:131]
	v_add_f64 v[130:131], v[190:191], v[176:177]
	v_add_f64 v[134:135], v[150:151], v[134:135]
	v_add_f64 v[148:149], v[192:193], v[178:179]
	v_add_f64 v[142:143], v[154:155], v[142:143]
	v_add_f64 v[108:109], v[116:117], v[108:109]
	v_add_f64 v[36:37], v[122:123], v[36:37]
	v_add_f64 v[110:111], v[132:133], v[110:111]
	v_add_f64 v[116:117], v[202:203], v[124:125]
	v_add_f64 v[124:125], v[162:163], v[126:127]
	v_add_f64 v[126:127], v[204:205], v[130:131]
	v_fma_f64 v[132:133], v[128:129], s[12:13], v[168:169]
	v_fma_f64 v[160:161], v[128:129], s[4:5], v[160:161]
	v_add_f64 v[150:151], v[196:197], v[182:183]
	v_add_f64 v[36:37], v[118:119], v[36:37]
	;; [unrolled: 1-line block ×4, first 2 shown]
	v_mul_f64 v[104:105], v[120:121], s[26:27]
	v_add_f64 v[102:103], v[106:107], v[102:103]
	v_add_f64 v[132:133], v[132:133], v[142:143]
	v_mul_f64 v[106:107], v[100:101], s[30:31]
	v_fma_f64 v[166:167], v[128:129], s[14:15], v[166:167]
	v_add_f64 v[130:131], v[114:115], v[36:37]
	v_add_f64 v[36:37], v[164:165], v[134:135]
	v_mul_f64 v[114:115], v[120:121], s[22:23]
	v_add_f64 v[134:135], v[206:207], v[148:149]
	v_mul_f64 v[148:149], v[120:121], s[30:31]
	v_fma_f64 v[208:209], v[128:129], s[12:13], -v[168:169]
	v_add_f64 v[122:123], v[152:153], v[140:141]
	v_add_f64 v[152:153], v[198:199], v[184:185]
	;; [unrolled: 1-line block ×3, first 2 shown]
	v_fma_f64 v[154:155], v[128:129], s[24:25], -v[104:105]
	v_fma_f64 v[120:121], v[128:129], s[10:11], -v[114:115]
	v_fma_f64 v[114:115], v[128:129], s[10:11], v[114:115]
	v_fma_f64 v[142:143], v[128:129], s[6:7], -v[148:149]
	v_fma_f64 v[148:149], v[128:129], s[6:7], v[148:149]
	v_fma_f64 v[104:105], v[128:129], s[24:25], v[104:105]
	v_mul_f64 v[128:129], v[100:101], s[34:35]
	v_add_f64 v[140:141], v[194:195], v[180:181]
	v_add_f64 v[122:123], v[166:167], v[122:123]
	;; [unrolled: 1-line block ×4, first 2 shown]
	v_mul_f64 v[150:151], v[100:101], s[42:43]
	v_add_f64 v[144:145], v[148:149], v[146:147]
	v_fma_f64 v[146:147], v[102:103], s[6:7], -v[106:107]
	v_mul_f64 v[148:149], v[100:101], s[46:47]
	v_fma_f64 v[106:107], v[102:103], s[6:7], v[106:107]
	v_add_f64 v[142:143], v[142:143], v[152:153]
	v_add_f64 v[104:105], v[104:105], v[108:109]
	v_fma_f64 v[108:109], v[102:103], s[28:29], -v[128:129]
	v_fma_f64 v[128:129], v[102:103], s[28:29], v[128:129]
	v_add_f64 v[140:141], v[208:209], v[140:141]
	v_add_f64 v[110:111], v[146:147], v[110:111]
	v_mul_f64 v[146:147], v[100:101], s[40:41]
	v_fma_f64 v[152:153], v[102:103], s[14:15], -v[148:149]
	v_fma_f64 v[148:149], v[102:103], s[14:15], v[148:149]
	v_add_f64 v[106:107], v[106:107], v[112:113]
	v_fma_f64 v[112:113], v[102:103], s[10:11], -v[150:151]
	v_add_f64 v[108:109], v[108:109], v[116:117]
	v_add_f64 v[116:117], v[128:129], v[124:125]
	v_fma_f64 v[124:125], v[102:103], s[10:11], v[150:151]
	v_fma_f64 v[128:129], v[102:103], s[4:5], -v[146:147]
	v_fma_f64 v[146:147], v[102:103], s[4:5], v[146:147]
	v_add_f64 v[36:37], v[148:149], v[36:37]
	v_mul_f64 v[148:149], v[100:101], s[26:27]
	v_add_f64 v[112:113], v[112:113], v[134:135]
	v_mul_f64 v[134:135], v[100:101], s[52:53]
	v_add_f64 v[92:93], v[92:93], -v[96:97]
	v_add_f64 v[122:123], v[124:125], v[122:123]
	v_add_f64 v[124:125], v[128:129], v[140:141]
	v_mul_f64 v[96:97], v[100:101], s[44:45]
	v_add_f64 v[128:129], v[146:147], v[132:133]
	v_fma_f64 v[100:101], v[102:103], s[24:25], -v[148:149]
	v_fma_f64 v[132:133], v[102:103], s[24:25], v[148:149]
	v_fma_f64 v[140:141], v[102:103], s[18:19], -v[134:135]
	v_fma_f64 v[134:135], v[102:103], s[18:19], v[134:135]
	v_add_f64 v[94:95], v[98:99], v[94:95]
	v_mul_f64 v[98:99], v[92:93], s[16:17]
	v_fma_f64 v[146:147], v[102:103], s[12:13], -v[96:97]
	v_fma_f64 v[96:97], v[102:103], s[12:13], v[96:97]
	v_add_f64 v[100:101], v[100:101], v[120:121]
	v_add_f64 v[102:103], v[132:133], v[114:115]
	v_mul_f64 v[114:115], v[92:93], s[48:49]
	v_add_f64 v[120:121], v[140:141], v[142:143]
	v_add_f64 v[132:133], v[134:135], v[144:145]
	v_fma_f64 v[134:135], v[94:95], s[14:15], -v[98:99]
	v_mul_f64 v[140:141], v[92:93], s[44:45]
	v_fma_f64 v[98:99], v[94:95], s[14:15], v[98:99]
	v_mul_f64 v[142:143], v[92:93], s[40:41]
	v_add_f64 v[96:97], v[96:97], v[104:105]
	v_fma_f64 v[104:105], v[94:95], s[24:25], -v[114:115]
	v_fma_f64 v[114:115], v[94:95], s[24:25], v[114:115]
	v_add_f64 v[84:85], v[84:85], -v[88:89]
	v_add_f64 v[110:111], v[134:135], v[110:111]
	v_mul_f64 v[134:135], v[92:93], s[34:35]
	v_fma_f64 v[144:145], v[94:95], s[12:13], -v[140:141]
	v_fma_f64 v[140:141], v[94:95], s[12:13], v[140:141]
	v_add_f64 v[98:99], v[98:99], v[106:107]
	v_fma_f64 v[106:107], v[94:95], s[4:5], -v[142:143]
	v_add_f64 v[104:105], v[104:105], v[108:109]
	v_add_f64 v[108:109], v[114:115], v[116:117]
	v_fma_f64 v[114:115], v[94:95], s[4:5], v[142:143]
	v_fma_f64 v[116:117], v[94:95], s[28:29], -v[134:135]
	v_fma_f64 v[134:135], v[94:95], s[28:29], v[134:135]
	v_add_f64 v[36:37], v[140:141], v[36:37]
	v_mul_f64 v[140:141], v[92:93], s[50:51]
	v_add_f64 v[106:107], v[106:107], v[112:113]
	v_mul_f64 v[112:113], v[92:93], s[22:23]
	v_mul_f64 v[88:89], v[92:93], s[20:21]
	v_add_f64 v[114:115], v[114:115], v[122:123]
	v_add_f64 v[116:117], v[116:117], v[124:125]
	;; [unrolled: 1-line block ×4, first 2 shown]
	v_fma_f64 v[92:93], v[94:95], s[6:7], -v[140:141]
	v_fma_f64 v[124:125], v[94:95], s[6:7], v[140:141]
	v_fma_f64 v[128:129], v[94:95], s[10:11], -v[112:113]
	v_mul_f64 v[90:91], v[84:85], s[20:21]
	v_fma_f64 v[134:135], v[94:95], s[18:19], -v[88:89]
	v_fma_f64 v[88:89], v[94:95], s[18:19], v[88:89]
	v_fma_f64 v[112:113], v[94:95], s[10:11], v[112:113]
	v_add_f64 v[118:119], v[200:201], v[186:187]
	v_add_f64 v[92:93], v[92:93], v[100:101]
	;; [unrolled: 1-line block ×4, first 2 shown]
	v_mul_f64 v[102:103], v[84:85], s[46:47]
	v_fma_f64 v[120:121], v[86:87], s[18:19], -v[90:91]
	v_mul_f64 v[124:125], v[84:85], s[22:23]
	v_add_f64 v[88:89], v[88:89], v[96:97]
	v_fma_f64 v[90:91], v[86:87], s[18:19], v[90:91]
	v_mul_f64 v[96:97], v[84:85], s[26:27]
	v_add_f64 v[112:113], v[112:113], v[132:133]
	v_add_f64 v[118:119], v[154:155], v[118:119]
	v_fma_f64 v[128:129], v[86:87], s[14:15], -v[102:103]
	v_fma_f64 v[102:103], v[86:87], s[14:15], v[102:103]
	v_add_f64 v[110:111], v[120:121], v[110:111]
	v_mul_f64 v[120:121], v[84:85], s[50:51]
	v_fma_f64 v[132:133], v[86:87], s[10:11], -v[124:125]
	v_fma_f64 v[124:125], v[86:87], s[10:11], v[124:125]
	v_add_f64 v[90:91], v[90:91], v[98:99]
	v_fma_f64 v[98:99], v[86:87], s[24:25], -v[96:97]
	v_fma_f64 v[96:97], v[86:87], s[24:25], v[96:97]
	v_add_f64 v[102:103], v[102:103], v[108:109]
	v_add_f64 v[76:77], v[76:77], -v[80:81]
	v_fma_f64 v[108:109], v[86:87], s[6:7], -v[120:121]
	v_mul_f64 v[80:81], v[84:85], s[38:39]
	v_add_f64 v[36:37], v[124:125], v[36:37]
	v_mul_f64 v[124:125], v[84:85], s[36:37]
	v_add_f64 v[98:99], v[98:99], v[106:107]
	v_fma_f64 v[106:107], v[86:87], s[6:7], v[120:121]
	v_mul_f64 v[120:121], v[84:85], s[34:35]
	v_add_f64 v[126:127], v[152:153], v[126:127]
	v_add_f64 v[118:119], v[146:147], v[118:119]
	;; [unrolled: 1-line block ×4, first 2 shown]
	v_fma_f64 v[84:85], v[86:87], s[12:13], -v[124:125]
	v_fma_f64 v[114:115], v[86:87], s[12:13], v[124:125]
	v_add_f64 v[106:107], v[106:107], v[122:123]
	v_fma_f64 v[116:117], v[86:87], s[28:29], -v[120:121]
	v_fma_f64 v[120:121], v[86:87], s[28:29], v[120:121]
	v_add_f64 v[78:79], v[82:83], v[78:79]
	v_mul_f64 v[82:83], v[76:77], s[26:27]
	v_fma_f64 v[122:123], v[86:87], s[4:5], -v[80:81]
	v_fma_f64 v[80:81], v[86:87], s[4:5], v[80:81]
	v_add_f64 v[126:127], v[144:145], v[126:127]
	v_add_f64 v[118:119], v[134:135], v[118:119]
	;; [unrolled: 1-line block ×5, first 2 shown]
	v_mul_f64 v[94:95], v[76:77], s[38:39]
	v_add_f64 v[100:101], v[120:121], v[112:113]
	v_fma_f64 v[112:113], v[78:79], s[24:25], -v[82:83]
	v_mul_f64 v[116:117], v[76:77], s[30:31]
	v_fma_f64 v[82:83], v[78:79], s[24:25], v[82:83]
	v_add_f64 v[80:81], v[80:81], v[88:89]
	v_mul_f64 v[88:89], v[76:77], s[52:53]
	v_add_f64 v[104:105], v[128:129], v[104:105]
	v_add_f64 v[126:127], v[132:133], v[126:127]
	;; [unrolled: 1-line block ×3, first 2 shown]
	v_fma_f64 v[118:119], v[78:79], s[4:5], -v[94:95]
	v_fma_f64 v[94:95], v[78:79], s[4:5], v[94:95]
	v_add_f64 v[110:111], v[112:113], v[110:111]
	v_mul_f64 v[112:113], v[76:77], s[22:23]
	v_fma_f64 v[120:121], v[78:79], s[6:7], -v[116:117]
	v_add_f64 v[82:83], v[82:83], v[90:91]
	v_fma_f64 v[90:91], v[78:79], s[6:7], v[116:117]
	v_fma_f64 v[116:117], v[78:79], s[18:19], -v[88:89]
	v_add_f64 v[104:105], v[118:119], v[104:105]
	v_add_f64 v[94:95], v[94:95], v[102:103]
	v_fma_f64 v[88:89], v[78:79], s[18:19], v[88:89]
	v_fma_f64 v[102:103], v[78:79], s[10:11], -v[112:113]
	v_add_f64 v[118:119], v[120:121], v[126:127]
	v_mul_f64 v[120:121], v[76:77], s[34:35]
	v_add_f64 v[36:37], v[90:91], v[36:37]
	v_add_f64 v[90:91], v[116:117], v[98:99]
	v_fma_f64 v[98:99], v[78:79], s[10:11], v[112:113]
	v_mul_f64 v[112:113], v[76:77], s[44:45]
	v_add_f64 v[68:69], v[68:69], -v[72:73]
	v_add_f64 v[88:89], v[88:89], v[96:97]
	v_add_f64 v[96:97], v[102:103], v[108:109]
	v_fma_f64 v[72:73], v[78:79], s[28:29], -v[120:121]
	v_fma_f64 v[102:103], v[78:79], s[28:29], v[120:121]
	v_mul_f64 v[76:77], v[76:77], s[16:17]
	v_add_f64 v[98:99], v[98:99], v[106:107]
	v_fma_f64 v[106:107], v[78:79], s[12:13], -v[112:113]
	v_add_f64 v[70:71], v[74:75], v[70:71]
	v_mul_f64 v[74:75], v[68:69], s[34:35]
	v_fma_f64 v[108:109], v[78:79], s[12:13], v[112:113]
	v_add_f64 v[72:73], v[72:73], v[84:85]
	v_add_f64 v[84:85], v[102:103], v[92:93]
	v_fma_f64 v[92:93], v[78:79], s[14:15], -v[76:77]
	v_mul_f64 v[102:103], v[68:69], s[42:43]
	v_add_f64 v[86:87], v[106:107], v[86:87]
	v_fma_f64 v[76:77], v[78:79], s[14:15], v[76:77]
	v_fma_f64 v[78:79], v[70:71], s[28:29], -v[74:75]
	v_mul_f64 v[106:107], v[68:69], s[26:27]
	v_fma_f64 v[74:75], v[70:71], s[28:29], v[74:75]
	v_add_f64 v[100:101], v[108:109], v[100:101]
	v_mul_f64 v[112:113], v[68:69], s[44:45]
	v_fma_f64 v[108:109], v[70:71], s[10:11], -v[102:103]
	v_fma_f64 v[102:103], v[70:71], s[10:11], v[102:103]
	v_add_f64 v[76:77], v[76:77], v[80:81]
	v_add_f64 v[116:117], v[78:79], v[110:111]
	v_fma_f64 v[78:79], v[70:71], s[24:25], -v[106:107]
	v_add_f64 v[122:123], v[74:75], v[82:83]
	v_fma_f64 v[74:75], v[70:71], s[24:25], v[106:107]
	v_fma_f64 v[80:81], v[70:71], s[12:13], -v[112:113]
	v_fma_f64 v[82:83], v[70:71], s[12:13], v[112:113]
	v_add_f64 v[132:133], v[102:103], v[94:95]
	v_mul_f64 v[94:95], v[68:69], s[20:21]
	v_add_f64 v[92:93], v[92:93], v[114:115]
	v_add_f64 v[118:119], v[78:79], v[118:119]
	v_mul_f64 v[78:79], v[68:69], s[38:39]
	v_add_f64 v[134:135], v[74:75], v[36:37]
	v_mul_f64 v[36:37], v[68:69], s[16:17]
	v_mul_f64 v[68:69], v[68:69], s[50:51]
	v_add_f64 v[140:141], v[80:81], v[90:91]
	v_add_f64 v[142:143], v[82:83], v[88:89]
	v_fma_f64 v[74:75], v[70:71], s[18:19], -v[94:95]
	v_fma_f64 v[80:81], v[70:71], s[18:19], v[94:95]
	v_fma_f64 v[82:83], v[70:71], s[4:5], -v[78:79]
	v_fma_f64 v[78:79], v[70:71], s[4:5], v[78:79]
	v_fma_f64 v[88:89], v[70:71], s[14:15], -v[36:37]
	v_fma_f64 v[90:91], v[70:71], s[6:7], -v[68:69]
	v_fma_f64 v[68:69], v[70:71], s[6:7], v[68:69]
	v_fma_f64 v[36:37], v[70:71], s[14:15], v[36:37]
	v_add_f64 v[127:128], v[108:109], v[104:105]
	v_add_f64 v[144:145], v[74:75], v[96:97]
	;; [unrolled: 1-line block ×7, first 2 shown]
	v_lshlrev_b32_e32 v68, 3, v136
	v_add3_u32 v121, 0, v68, v174
	v_add3_u32 v120, 0, v174, v68
	v_add_u32_e32 v126, 0x400, v121
	v_add_u32_e32 v125, 0x800, v121
	v_add_f64 v[154:155], v[36:37], v[100:101]
	v_add_f64 v[156:157], v[90:91], v[92:93]
	s_waitcnt lgkmcnt(0)
	; wave barrier
	s_waitcnt lgkmcnt(0)
	ds_read_b64 v[36:37], v120
	ds_read2_b64 v[112:115], v121 offset0:85 offset1:102
	ds_read2_b64 v[84:87], v121 offset0:153 offset1:170
	;; [unrolled: 1-line block ×12, first 2 shown]
	s_waitcnt lgkmcnt(0)
	; wave barrier
	s_waitcnt lgkmcnt(0)
	ds_write2_b64 v175, v[130:131], v[116:117] offset1:1
	ds_write2_b64 v175, v[127:128], v[118:119] offset0:2 offset1:3
	ds_write2_b64 v175, v[140:141], v[144:145] offset0:4 offset1:5
	;; [unrolled: 1-line block ×7, first 2 shown]
	ds_write_b64 v175, v[122:123] offset:128
	s_and_saveexec_b64 s[4:5], s[0:1]
	s_cbranch_execz .LBB0_16
; %bb.15:
	v_add_f64 v[116:117], v[66:67], v[38:39]
	v_add_f64 v[60:61], v[64:65], -v[60:61]
	v_add_f64 v[48:49], v[48:49], -v[56:57]
	s_mov_b32 s38, 0x2a9d6da3
	s_mov_b32 s34, 0xeb564b22
	;; [unrolled: 1-line block ×5, first 2 shown]
	v_add_f64 v[64:65], v[50:51], v[116:117]
	s_mov_b32 s37, 0xbfc7851a
	v_add_f64 v[66:67], v[62:63], v[66:67]
	v_mul_f64 v[116:117], v[60:61], s[38:39]
	v_mul_f64 v[118:119], v[60:61], s[40:41]
	;; [unrolled: 1-line block ×5, first 2 shown]
	v_add_f64 v[64:65], v[42:43], v[64:65]
	v_mul_f64 v[131:132], v[60:61], s[26:27]
	s_mov_b32 s14, 0x370991
	s_mov_b32 s10, 0x75d4884
	;; [unrolled: 1-line block ×6, first 2 shown]
	v_add_f64 v[64:65], v[30:31], v[64:65]
	s_mov_b32 s1, 0x3fdc86fa
	s_mov_b32 s13, 0xbfd183b1
	v_add_f64 v[50:51], v[58:59], v[50:51]
	v_mul_f64 v[133:134], v[48:49], s[38:39]
	v_mul_f64 v[140:141], v[48:49], s[34:35]
	;; [unrolled: 1-line block ×4, first 2 shown]
	v_add_f64 v[64:65], v[26:27], v[64:65]
	v_fma_f64 v[154:155], v[66:67], s[10:11], -v[116:117]
	v_fma_f64 v[116:117], v[66:67], s[10:11], v[116:117]
	v_fma_f64 v[156:157], v[66:67], s[0:1], -v[118:119]
	v_fma_f64 v[118:119], v[66:67], s[0:1], v[118:119]
	;; [unrolled: 2-line block ×3, first 2 shown]
	v_fma_f64 v[160:161], v[66:67], s[12:13], -v[127:128]
	v_add_f64 v[64:65], v[18:19], v[64:65]
	v_fma_f64 v[127:128], v[66:67], s[12:13], v[127:128]
	v_fma_f64 v[162:163], v[66:67], s[18:19], -v[129:130]
	v_fma_f64 v[129:130], v[66:67], s[18:19], v[129:130]
	v_fma_f64 v[164:165], v[66:67], s[24:25], -v[131:132]
	v_fma_f64 v[131:132], v[66:67], s[24:25], v[131:132]
	s_mov_b32 s31, 0x3feca52d
	s_mov_b32 s48, s26
	v_add_f64 v[56:57], v[10:11], v[64:65]
	v_mul_f64 v[64:65], v[60:61], s[22:23]
	v_mul_f64 v[60:61], v[60:61], s[36:37]
	s_mov_b32 s46, s16
	s_mov_b32 s30, s40
	v_mul_f64 v[146:147], v[48:49], s[48:49]
	v_mul_f64 v[148:149], v[48:49], s[46:47]
	;; [unrolled: 1-line block ×3, first 2 shown]
	v_add_f64 v[56:57], v[2:3], v[56:57]
	v_fma_f64 v[152:153], v[66:67], s[14:15], -v[64:65]
	v_fma_f64 v[64:65], v[66:67], s[14:15], v[64:65]
	v_fma_f64 v[166:167], v[66:67], s[28:29], -v[60:61]
	v_fma_f64 v[60:61], v[66:67], s[28:29], v[60:61]
	v_fma_f64 v[66:67], v[50:51], s[10:11], -v[133:134]
	v_fma_f64 v[168:169], v[50:51], s[6:7], -v[140:141]
	v_fma_f64 v[140:141], v[50:51], s[6:7], v[140:141]
	v_add_f64 v[56:57], v[6:7], v[56:57]
	v_fma_f64 v[170:171], v[50:51], s[18:19], -v[142:143]
	v_fma_f64 v[142:143], v[50:51], s[18:19], v[142:143]
	v_fma_f64 v[172:173], v[50:51], s[28:29], -v[144:145]
	v_fma_f64 v[144:145], v[50:51], s[28:29], v[144:145]
	v_add_f64 v[152:153], v[38:39], v[152:153]
	v_add_f64 v[64:65], v[38:39], v[64:65]
	;; [unrolled: 1-line block ×18, first 2 shown]
	v_add_f64 v[40:41], v[40:41], -v[52:53]
	v_add_f64 v[56:57], v[34:35], v[56:57]
	s_mov_b32 s42, s22
	v_add_f64 v[118:119], v[142:143], v[118:119]
	v_fma_f64 v[142:143], v[50:51], s[12:13], v[148:149]
	v_mul_f64 v[48:49], v[48:49], s[42:43]
	v_add_f64 v[42:43], v[54:55], v[42:43]
	v_fma_f64 v[133:134], v[50:51], s[10:11], v[133:134]
	v_fma_f64 v[175:176], v[50:51], s[24:25], -v[146:147]
	v_add_f64 v[56:57], v[46:47], v[56:57]
	v_fma_f64 v[52:53], v[50:51], s[12:13], -v[148:149]
	s_mov_b32 s45, 0x3fc7851a
	v_add_f64 v[129:130], v[142:143], v[129:130]
	v_fma_f64 v[142:143], v[50:51], s[14:15], -v[48:49]
	v_fma_f64 v[48:49], v[50:51], s[14:15], v[48:49]
	s_mov_b32 s44, s36
	v_add_f64 v[28:29], v[28:29], -v[44:45]
	v_add_f64 v[56:57], v[54:55], v[56:57]
	v_mul_f64 v[54:55], v[40:41], s[40:41]
	v_add_f64 v[52:53], v[52:53], v[162:163]
	v_add_f64 v[30:31], v[46:47], v[30:31]
	;; [unrolled: 1-line block ×4, first 2 shown]
	v_mul_f64 v[60:61], v[40:41], s[46:47]
	v_mul_f64 v[46:47], v[28:29], s[34:35]
	v_add_f64 v[38:39], v[58:59], v[56:57]
	v_add_f64 v[56:57], v[66:67], v[152:153]
	;; [unrolled: 1-line block ×3, first 2 shown]
	v_fma_f64 v[140:141], v[50:51], s[24:25], v[146:147]
	v_fma_f64 v[146:147], v[50:51], s[0:1], v[150:151]
	v_add_f64 v[58:59], v[133:134], v[64:65]
	v_add_f64 v[64:65], v[168:169], v[154:155]
	;; [unrolled: 1-line block ×5, first 2 shown]
	v_fma_f64 v[144:145], v[50:51], s[0:1], -v[150:151]
	v_add_f64 v[127:128], v[140:141], v[127:128]
	v_fma_f64 v[50:51], v[42:43], s[0:1], -v[54:55]
	v_add_f64 v[131:132], v[146:147], v[131:132]
	v_mul_f64 v[146:147], v[40:41], s[44:45]
	v_fma_f64 v[54:55], v[42:43], s[0:1], v[54:55]
	s_mov_b32 s45, 0x3fe58eea
	s_mov_b32 s44, s38
	v_add_f64 v[140:141], v[144:145], v[164:165]
	v_mul_f64 v[144:145], v[40:41], s[20:21]
	v_add_f64 v[50:51], v[50:51], v[56:57]
	v_add_f64 v[133:134], v[172:173], v[158:159]
	v_fma_f64 v[148:149], v[42:43], s[28:29], -v[146:147]
	v_mul_f64 v[150:151], v[40:41], s[44:45]
	v_add_f64 v[54:55], v[54:55], v[58:59]
	v_fma_f64 v[58:59], v[42:43], s[28:29], v[146:147]
	v_fma_f64 v[146:147], v[42:43], s[12:13], -v[60:61]
	v_fma_f64 v[56:57], v[42:43], s[18:19], -v[144:145]
	v_fma_f64 v[144:145], v[42:43], s[18:19], v[144:145]
	v_fma_f64 v[60:61], v[42:43], s[12:13], v[60:61]
	v_add_f64 v[122:123], v[175:176], v[160:161]
	s_mov_b32 s51, 0x3fe9895b
	s_mov_b32 s50, s20
	v_add_f64 v[58:59], v[58:59], v[118:119]
	v_add_f64 v[118:119], v[146:147], v[133:134]
	v_add_f64 v[56:57], v[56:57], v[64:65]
	v_add_f64 v[64:65], v[144:145], v[66:67]
	v_mul_f64 v[144:145], v[40:41], s[22:23]
	v_add_f64 v[66:67], v[148:149], v[116:117]
	v_fma_f64 v[116:117], v[42:43], s[10:11], -v[150:151]
	v_mul_f64 v[133:134], v[40:41], s[34:35]
	v_add_f64 v[60:61], v[60:61], v[62:63]
	v_mul_f64 v[40:41], v[40:41], s[26:27]
	v_fma_f64 v[146:147], v[42:43], s[10:11], v[150:151]
	v_add_f64 v[24:25], v[24:25], -v[32:33]
	v_fma_f64 v[62:63], v[42:43], s[14:15], -v[144:145]
	v_add_f64 v[26:27], v[34:35], v[26:27]
	v_add_f64 v[44:45], v[116:117], v[122:123]
	v_fma_f64 v[116:117], v[42:43], s[14:15], v[144:145]
	v_fma_f64 v[122:123], v[42:43], s[6:7], -v[133:134]
	v_fma_f64 v[133:134], v[42:43], s[6:7], v[133:134]
	v_add_f64 v[127:128], v[146:147], v[127:128]
	v_mul_f64 v[34:35], v[24:25], s[16:17]
	v_add_f64 v[52:53], v[62:63], v[52:53]
	v_fma_f64 v[62:63], v[42:43], s[24:25], -v[40:41]
	v_fma_f64 v[40:41], v[42:43], s[24:25], v[40:41]
	v_mul_f64 v[42:43], v[28:29], s[36:37]
	v_add_f64 v[116:117], v[116:117], v[129:130]
	v_add_f64 v[122:123], v[122:123], v[140:141]
	v_fma_f64 v[129:130], v[30:31], s[6:7], -v[46:47]
	v_add_f64 v[131:132], v[133:134], v[131:132]
	v_mul_f64 v[133:134], v[28:29], s[46:47]
	v_fma_f64 v[46:47], v[30:31], s[6:7], v[46:47]
	v_mul_f64 v[140:141], v[28:29], s[42:43]
	v_add_f64 v[40:41], v[40:41], v[48:49]
	v_fma_f64 v[48:49], v[30:31], s[28:29], -v[42:43]
	v_add_f64 v[62:63], v[62:63], v[142:143]
	v_add_f64 v[50:51], v[129:130], v[50:51]
	v_fma_f64 v[42:43], v[30:31], s[28:29], v[42:43]
	v_fma_f64 v[129:130], v[30:31], s[12:13], -v[133:134]
	v_fma_f64 v[133:134], v[30:31], s[12:13], v[133:134]
	v_add_f64 v[46:47], v[46:47], v[54:55]
	v_fma_f64 v[54:55], v[30:31], s[14:15], -v[140:141]
	v_mul_f64 v[142:143], v[28:29], s[40:41]
	v_add_f64 v[48:49], v[48:49], v[56:57]
	v_mul_f64 v[56:57], v[28:29], s[26:27]
	v_add_f64 v[42:43], v[42:43], v[64:65]
	v_add_f64 v[64:65], v[129:130], v[66:67]
	;; [unrolled: 1-line block ×3, first 2 shown]
	v_fma_f64 v[66:67], v[30:31], s[14:15], v[140:141]
	v_add_f64 v[54:55], v[54:55], v[118:119]
	v_fma_f64 v[118:119], v[30:31], s[0:1], -v[142:143]
	v_fma_f64 v[129:130], v[30:31], s[0:1], v[142:143]
	v_fma_f64 v[133:134], v[30:31], s[24:25], -v[56:57]
	v_mul_f64 v[140:141], v[28:29], s[50:51]
	v_mul_f64 v[28:29], v[28:29], s[44:45]
	v_fma_f64 v[56:57], v[30:31], s[24:25], v[56:57]
	v_add_f64 v[60:61], v[66:67], v[60:61]
	v_add_f64 v[16:17], v[16:17], -v[20:21]
	v_add_f64 v[44:45], v[118:119], v[44:45]
	v_add_f64 v[32:33], v[129:130], v[127:128]
	v_mul_f64 v[129:130], v[24:25], s[40:41]
	v_fma_f64 v[66:67], v[30:31], s[18:19], -v[140:141]
	v_fma_f64 v[118:119], v[30:31], s[18:19], v[140:141]
	v_fma_f64 v[127:128], v[30:31], s[10:11], -v[28:29]
	v_fma_f64 v[28:29], v[30:31], s[10:11], v[28:29]
	v_add_f64 v[30:31], v[56:57], v[116:117]
	v_mul_f64 v[56:57], v[24:25], s[48:49]
	v_mul_f64 v[116:117], v[24:25], s[44:45]
	s_mov_b32 s41, 0x3fefdd0d
	v_add_f64 v[66:67], v[66:67], v[122:123]
	v_fma_f64 v[122:123], v[26:27], s[12:13], -v[34:35]
	v_add_f64 v[62:63], v[127:128], v[62:63]
	v_add_f64 v[28:29], v[28:29], v[40:41]
	v_fma_f64 v[34:35], v[26:27], s[12:13], v[34:35]
	v_fma_f64 v[40:41], v[26:27], s[24:25], -v[56:57]
	v_fma_f64 v[56:57], v[26:27], s[24:25], v[56:57]
	v_fma_f64 v[127:128], v[26:27], s[10:11], -v[116:117]
	v_fma_f64 v[116:117], v[26:27], s[10:11], v[116:117]
	v_add_f64 v[50:51], v[122:123], v[50:51]
	v_mul_f64 v[122:123], v[24:25], s[36:37]
	s_mov_b32 s40, s34
	v_add_f64 v[34:35], v[34:35], v[46:47]
	v_add_f64 v[40:41], v[40:41], v[48:49]
	v_fma_f64 v[48:49], v[26:27], s[0:1], -v[129:130]
	v_add_f64 v[42:43], v[56:57], v[42:43]
	v_add_f64 v[46:47], v[127:128], v[64:65]
	;; [unrolled: 1-line block ×3, first 2 shown]
	v_fma_f64 v[58:59], v[26:27], s[0:1], v[129:130]
	v_fma_f64 v[64:65], v[26:27], s[28:29], -v[122:123]
	v_mul_f64 v[116:117], v[24:25], s[40:41]
	v_mul_f64 v[20:21], v[24:25], s[20:21]
	v_add_f64 v[48:49], v[48:49], v[54:55]
	v_mul_f64 v[54:55], v[24:25], s[22:23]
	v_add_f64 v[52:53], v[133:134], v[52:53]
	v_add_f64 v[18:19], v[22:23], v[18:19]
	;; [unrolled: 1-line block ×4, first 2 shown]
	v_fma_f64 v[24:25], v[26:27], s[6:7], -v[116:117]
	v_fma_f64 v[60:61], v[26:27], s[6:7], v[116:117]
	v_mul_f64 v[22:23], v[16:17], s[20:21]
	v_fma_f64 v[64:65], v[26:27], s[14:15], -v[54:55]
	v_fma_f64 v[116:117], v[26:27], s[18:19], -v[20:21]
	v_fma_f64 v[20:21], v[26:27], s[18:19], v[20:21]
	v_fma_f64 v[122:123], v[26:27], s[28:29], v[122:123]
	;; [unrolled: 1-line block ×3, first 2 shown]
	v_add_f64 v[24:25], v[24:25], v[52:53]
	v_add_f64 v[26:27], v[60:61], v[30:31]
	v_mul_f64 v[52:53], v[16:17], s[46:47]
	v_add_f64 v[30:31], v[64:65], v[66:67]
	v_fma_f64 v[60:61], v[18:19], s[18:19], -v[22:23]
	v_mul_f64 v[64:65], v[16:17], s[22:23]
	v_add_f64 v[20:21], v[20:21], v[28:29]
	v_fma_f64 v[22:23], v[18:19], s[18:19], v[22:23]
	v_mul_f64 v[28:29], v[16:17], s[26:27]
	v_add_f64 v[62:63], v[116:117], v[62:63]
	v_fma_f64 v[66:67], v[18:19], s[12:13], -v[52:53]
	v_fma_f64 v[52:53], v[18:19], s[12:13], v[52:53]
	v_add_f64 v[50:51], v[60:61], v[50:51]
	v_mul_f64 v[60:61], v[16:17], s[40:41]
	v_fma_f64 v[116:117], v[18:19], s[14:15], -v[64:65]
	v_fma_f64 v[64:65], v[18:19], s[14:15], v[64:65]
	v_add_f64 v[22:23], v[22:23], v[34:35]
	v_fma_f64 v[34:35], v[18:19], s[24:25], -v[28:29]
	v_add_f64 v[32:33], v[122:123], v[32:33]
	v_add_f64 v[42:43], v[52:53], v[42:43]
	v_add_f64 v[8:9], v[8:9], -v[12:13]
	v_fma_f64 v[52:53], v[18:19], s[6:7], -v[60:61]
	v_add_f64 v[118:119], v[118:119], v[131:132]
	v_add_f64 v[56:57], v[64:65], v[56:57]
	v_mul_f64 v[64:65], v[16:17], s[38:39]
	v_add_f64 v[34:35], v[34:35], v[48:49]
	v_fma_f64 v[48:49], v[18:19], s[6:7], v[60:61]
	v_mul_f64 v[60:61], v[16:17], s[36:37]
	v_fma_f64 v[28:29], v[18:19], s[24:25], v[28:29]
	v_mul_f64 v[12:13], v[16:17], s[30:31]
	v_add_f64 v[44:45], v[52:53], v[44:45]
	v_add_f64 v[10:11], v[14:15], v[10:11]
	v_fma_f64 v[16:17], v[18:19], s[10:11], -v[64:65]
	v_fma_f64 v[52:53], v[18:19], s[10:11], v[64:65]
	v_add_f64 v[32:33], v[48:49], v[32:33]
	v_fma_f64 v[48:49], v[18:19], s[28:29], -v[60:61]
	v_mul_f64 v[14:15], v[8:9], s[26:27]
	v_add_f64 v[54:55], v[54:55], v[118:119]
	v_add_f64 v[28:29], v[28:29], v[58:59]
	v_fma_f64 v[58:59], v[18:19], s[28:29], v[60:61]
	v_fma_f64 v[60:61], v[18:19], s[0:1], -v[12:13]
	v_fma_f64 v[12:13], v[18:19], s[0:1], v[12:13]
	v_add_f64 v[16:17], v[16:17], v[24:25]
	v_add_f64 v[24:25], v[52:53], v[26:27]
	;; [unrolled: 1-line block ×3, first 2 shown]
	v_mul_f64 v[26:27], v[8:9], s[30:31]
	v_fma_f64 v[48:49], v[10:11], s[24:25], -v[14:15]
	v_add_f64 v[30:31], v[58:59], v[54:55]
	v_mul_f64 v[54:55], v[8:9], s[34:35]
	v_fma_f64 v[14:15], v[10:11], s[24:25], v[14:15]
	v_add_f64 v[12:13], v[12:13], v[20:21]
	v_mul_f64 v[20:21], v[8:9], s[50:51]
	v_add_f64 v[40:41], v[66:67], v[40:41]
	v_fma_f64 v[58:59], v[10:11], s[0:1], -v[26:27]
	v_fma_f64 v[26:27], v[10:11], s[0:1], v[26:27]
	v_add_f64 v[48:49], v[48:49], v[50:51]
	v_mul_f64 v[50:51], v[8:9], s[22:23]
	v_add_f64 v[52:53], v[60:61], v[62:63]
	v_fma_f64 v[60:61], v[10:11], s[6:7], -v[54:55]
	v_add_f64 v[14:15], v[14:15], v[22:23]
	v_fma_f64 v[22:23], v[10:11], s[6:7], v[54:55]
	v_fma_f64 v[54:55], v[10:11], s[18:19], -v[20:21]
	v_add_f64 v[40:41], v[58:59], v[40:41]
	v_add_f64 v[26:27], v[26:27], v[42:43]
	v_fma_f64 v[20:21], v[10:11], s[18:19], v[20:21]
	v_fma_f64 v[42:43], v[10:11], s[14:15], -v[50:51]
	v_mul_f64 v[58:59], v[8:9], s[36:37]
	v_add_f64 v[0:1], v[0:1], -v[4:5]
	v_fma_f64 v[50:51], v[10:11], s[14:15], v[50:51]
	v_add_f64 v[34:35], v[54:55], v[34:35]
	v_mul_f64 v[54:55], v[8:9], s[44:45]
	v_mul_f64 v[8:9], v[8:9], s[16:17]
	v_add_f64 v[20:21], v[20:21], v[28:29]
	v_add_f64 v[28:29], v[42:43], v[44:45]
	v_fma_f64 v[4:5], v[10:11], s[28:29], -v[58:59]
	v_fma_f64 v[42:43], v[10:11], s[28:29], v[58:59]
	v_add_f64 v[2:3], v[6:7], v[2:3]
	v_mul_f64 v[6:7], v[0:1], s[36:37]
	v_fma_f64 v[44:45], v[10:11], s[10:11], -v[54:55]
	v_add_f64 v[32:33], v[50:51], v[32:33]
	v_fma_f64 v[50:51], v[10:11], s[10:11], v[54:55]
	v_add_f64 v[46:47], v[116:117], v[46:47]
	v_add_f64 v[4:5], v[4:5], v[16:17]
	;; [unrolled: 1-line block ×3, first 2 shown]
	v_fma_f64 v[24:25], v[10:11], s[12:13], -v[8:9]
	v_mul_f64 v[42:43], v[0:1], s[42:43]
	v_add_f64 v[18:19], v[44:45], v[18:19]
	v_fma_f64 v[8:9], v[10:11], s[12:13], v[8:9]
	v_fma_f64 v[10:11], v[2:3], s[28:29], -v[6:7]
	v_mul_f64 v[44:45], v[0:1], s[26:27]
	v_fma_f64 v[6:7], v[2:3], s[28:29], v[6:7]
	v_add_f64 v[30:31], v[50:51], v[30:31]
	v_add_f64 v[24:25], v[24:25], v[52:53]
	v_fma_f64 v[50:51], v[2:3], s[14:15], -v[42:43]
	v_fma_f64 v[42:43], v[2:3], s[14:15], v[42:43]
	v_mul_f64 v[52:53], v[0:1], s[44:45]
	v_add_f64 v[46:47], v[60:61], v[46:47]
	v_add_f64 v[22:23], v[22:23], v[56:57]
	;; [unrolled: 1-line block ×3, first 2 shown]
	v_fma_f64 v[12:13], v[2:3], s[24:25], -v[44:45]
	v_add_f64 v[6:7], v[6:7], v[14:15]
	v_fma_f64 v[14:15], v[2:3], s[24:25], v[44:45]
	v_add_f64 v[10:11], v[10:11], v[48:49]
	v_add_f64 v[26:27], v[42:43], v[26:27]
	v_fma_f64 v[42:43], v[2:3], s[10:11], -v[52:53]
	v_mul_f64 v[48:49], v[0:1], s[20:21]
	v_fma_f64 v[44:45], v[2:3], s[10:11], v[52:53]
	v_add_f64 v[12:13], v[12:13], v[46:47]
	v_mul_f64 v[46:47], v[0:1], s[30:31]
	v_add_f64 v[14:15], v[14:15], v[22:23]
	v_mul_f64 v[22:23], v[0:1], s[16:17]
	v_mul_f64 v[0:1], v[0:1], s[40:41]
	v_add_f64 v[34:35], v[42:43], v[34:35]
	v_fma_f64 v[42:43], v[2:3], s[18:19], -v[48:49]
	v_add_f64 v[40:41], v[50:51], v[40:41]
	v_add_f64 v[20:21], v[44:45], v[20:21]
	v_fma_f64 v[44:45], v[2:3], s[18:19], v[48:49]
	v_fma_f64 v[48:49], v[2:3], s[0:1], -v[46:47]
	v_fma_f64 v[50:51], v[2:3], s[12:13], -v[22:23]
	;; [unrolled: 1-line block ×3, first 2 shown]
	v_fma_f64 v[0:1], v[2:3], s[6:7], v[0:1]
	v_fma_f64 v[46:47], v[2:3], s[0:1], v[46:47]
	;; [unrolled: 1-line block ×3, first 2 shown]
	v_add_f64 v[22:23], v[42:43], v[28:29]
	v_add_f64 v[28:29], v[44:45], v[32:33]
	;; [unrolled: 1-line block ×8, first 2 shown]
	v_mul_u32_u24_e32 v8, 0x88, v137
	v_add3_u32 v8, 0, v8, v174
	ds_write2_b64 v8, v[38:39], v[10:11] offset1:1
	ds_write2_b64 v8, v[40:41], v[12:13] offset0:2 offset1:3
	ds_write2_b64 v8, v[34:35], v[22:23] offset0:4 offset1:5
	;; [unrolled: 1-line block ×7, first 2 shown]
	ds_write_b64 v8, v[6:7] offset:128
.LBB0_16:
	s_or_b64 exec, exec, s[4:5]
	v_lshlrev_b32_e32 v116, 2, v136
	v_mov_b32_e32 v117, 0
	v_lshlrev_b64 v[0:1], 4, v[116:117]
	v_mov_b32_e32 v2, s9
	v_add_co_u32_e64 v118, s[0:1], s8, v0
	v_addc_co_u32_e64 v119, s[0:1], v2, v1, s[0:1]
	s_waitcnt lgkmcnt(0)
	; wave barrier
	s_waitcnt lgkmcnt(0)
	global_load_dwordx4 v[7:10], v[118:119], off
	global_load_dwordx4 v[11:14], v[118:119], off offset:16
	global_load_dwordx4 v[15:18], v[118:119], off offset:32
	;; [unrolled: 1-line block ×3, first 2 shown]
	v_add_u32_e32 v122, 34, v136
	s_movk_i32 s0, 0xf1
	v_mul_lo_u16_sdwa v0, v122, s0 dst_sel:DWORD dst_unused:UNUSED_PAD src0_sel:BYTE_0 src1_sel:DWORD
	v_lshrrev_b16_e32 v0, 12, v0
	v_mul_lo_u16_e32 v0, 17, v0
	v_sub_u16_e32 v4, v122, v0
	v_mov_b32_e32 v0, 6
	v_lshlrev_b32_sdwa v1, v0, v4 dst_sel:DWORD dst_unused:UNUSED_PAD src0_sel:DWORD src1_sel:BYTE_0
	global_load_dwordx4 v[23:26], v1, s[8:9]
	global_load_dwordx4 v[27:30], v1, s[8:9] offset:16
	global_load_dwordx4 v[31:34], v1, s[8:9] offset:32
	;; [unrolled: 1-line block ×3, first 2 shown]
	v_add_u32_e32 v123, 51, v136
	v_mul_lo_u16_sdwa v1, v123, s0 dst_sel:DWORD dst_unused:UNUSED_PAD src0_sel:BYTE_0 src1_sel:DWORD
	v_lshrrev_b16_e32 v1, 12, v1
	v_mul_lo_u16_e32 v1, 17, v1
	v_sub_u16_e32 v5, v123, v1
	v_lshlrev_b32_sdwa v1, v0, v5 dst_sel:DWORD dst_unused:UNUSED_PAD src0_sel:DWORD src1_sel:BYTE_0
	global_load_dwordx4 v[42:45], v1, s[8:9]
	global_load_dwordx4 v[46:49], v1, s[8:9] offset:16
	global_load_dwordx4 v[50:53], v1, s[8:9] offset:32
	;; [unrolled: 1-line block ×3, first 2 shown]
	v_add_u32_e32 v124, 0x44, v136
	v_mul_lo_u16_sdwa v1, v124, s0 dst_sel:DWORD dst_unused:UNUSED_PAD src0_sel:BYTE_0 src1_sel:DWORD
	v_lshrrev_b16_e32 v1, 12, v1
	v_mul_lo_u16_e32 v1, 17, v1
	v_sub_u16_e32 v6, v124, v1
	v_lshlrev_b32_sdwa v0, v0, v6 dst_sel:DWORD dst_unused:UNUSED_PAD src0_sel:DWORD src1_sel:BYTE_0
	global_load_dwordx4 v[58:61], v0, s[8:9]
	global_load_dwordx4 v[62:65], v0, s[8:9] offset:16
	ds_read_b64 v[66:67], v120
	ds_read2_b64 v[127:130], v121 offset0:85 offset1:102
	ds_read2_b64 v[131:134], v121 offset0:153 offset1:170
	ds_read2_b64 v[140:143], v126 offset0:127 offset1:144
	ds_read2_b64 v[144:147], v125 offset0:67 offset1:84
	global_load_dwordx4 v[148:151], v0, s[8:9] offset:48
	global_load_dwordx4 v[152:155], v0, s[8:9] offset:32
	ds_read2_b64 v[156:159], v121 offset0:17 offset1:34
	ds_read2_b64 v[160:163], v121 offset0:187 offset1:204
	;; [unrolled: 1-line block ×8, first 2 shown]
	s_mov_b32 s0, 0x134454ff
	s_mov_b32 s1, 0xbfee6f0e
	;; [unrolled: 1-line block ×10, first 2 shown]
	s_waitcnt lgkmcnt(0)
	; wave barrier
	s_waitcnt vmcnt(15) lgkmcnt(0)
	v_mul_f64 v[172:173], v[127:128], v[9:10]
	v_mul_f64 v[187:188], v[112:113], v[9:10]
	s_waitcnt vmcnt(14)
	v_mul_f64 v[189:190], v[133:134], v[13:14]
	v_mul_f64 v[191:192], v[86:87], v[13:14]
	s_waitcnt vmcnt(13)
	;; [unrolled: 3-line block ×3, first 2 shown]
	v_mul_f64 v[197:198], v[146:147], v[21:22]
	v_mul_f64 v[199:200], v[82:83], v[21:22]
	;; [unrolled: 1-line block ×10, first 2 shown]
	s_waitcnt vmcnt(11)
	v_mul_f64 v[209:210], v[168:169], v[25:26]
	v_mul_f64 v[25:26], v[96:97], v[25:26]
	v_fma_f64 v[112:113], v[112:113], v[7:8], v[172:173]
	v_fma_f64 v[127:128], v[127:128], v[7:8], -v[187:188]
	v_fma_f64 v[86:87], v[86:87], v[11:12], v[189:190]
	v_fma_f64 v[133:134], v[133:134], v[11:12], -v[191:192]
	;; [unrolled: 2-line block ×8, first 2 shown]
	s_waitcnt vmcnt(10)
	v_mul_f64 v[21:22], v[162:163], v[29:30]
	v_mul_f64 v[29:30], v[106:107], v[29:30]
	s_waitcnt vmcnt(9)
	v_mul_f64 v[100:101], v[175:176], v[33:34]
	v_mul_f64 v[33:34], v[92:93], v[33:34]
	v_fma_f64 v[96:97], v[96:97], v[23:24], v[209:210]
	s_waitcnt vmcnt(8)
	v_mul_f64 v[104:105], v[166:167], v[40:41]
	v_mul_f64 v[40:41], v[102:103], v[40:41]
	v_fma_f64 v[23:24], v[168:169], v[23:24], -v[25:26]
	v_fma_f64 v[21:22], v[106:107], v[27:28], v[21:22]
	v_fma_f64 v[25:26], v[162:163], v[27:28], -v[29:30]
	v_fma_f64 v[27:28], v[92:93], v[31:32], v[100:101]
	v_fma_f64 v[29:30], v[175:176], v[31:32], -v[33:34]
	s_waitcnt vmcnt(7)
	v_mul_f64 v[31:32], v[170:171], v[44:45]
	v_fma_f64 v[33:34], v[102:103], v[38:39], v[104:105]
	v_fma_f64 v[38:39], v[166:167], v[38:39], -v[40:41]
	v_mul_f64 v[40:41], v[98:99], v[44:45]
	s_waitcnt vmcnt(6)
	v_mul_f64 v[44:45], v[179:180], v[48:49]
	v_mul_f64 v[48:49], v[88:89], v[48:49]
	s_waitcnt vmcnt(5)
	v_mul_f64 v[92:93], v[177:178], v[52:53]
	v_mul_f64 v[52:53], v[94:95], v[52:53]
	v_fma_f64 v[31:32], v[98:99], v[42:43], v[31:32]
	s_waitcnt vmcnt(4)
	v_mul_f64 v[98:99], v[183:184], v[56:57]
	v_mul_f64 v[56:57], v[76:77], v[56:57]
	v_fma_f64 v[40:41], v[170:171], v[42:43], -v[40:41]
	v_fma_f64 v[42:43], v[88:89], v[46:47], v[44:45]
	v_fma_f64 v[44:45], v[179:180], v[46:47], -v[48:49]
	v_fma_f64 v[46:47], v[94:95], v[50:51], v[92:93]
	v_fma_f64 v[48:49], v[177:178], v[50:51], -v[52:53]
	s_waitcnt vmcnt(3)
	v_mul_f64 v[50:51], v[131:132], v[60:61]
	v_fma_f64 v[52:53], v[76:77], v[54:55], v[98:99]
	v_fma_f64 v[54:55], v[183:184], v[54:55], -v[56:57]
	v_mul_f64 v[56:57], v[84:85], v[60:61]
	s_waitcnt vmcnt(2)
	v_mul_f64 v[60:61], v[181:182], v[64:65]
	v_add_f64 v[76:77], v[36:37], v[112:113]
	v_mul_f64 v[64:65], v[90:91], v[64:65]
	v_add_f64 v[88:89], v[86:87], v[108:109]
	v_fma_f64 v[50:51], v[84:85], v[58:59], v[50:51]
	s_waitcnt vmcnt(0)
	v_mul_f64 v[84:85], v[144:145], v[154:155]
	v_mul_f64 v[92:93], v[80:81], v[154:155]
	v_fma_f64 v[56:57], v[131:132], v[58:59], -v[56:57]
	v_fma_f64 v[58:59], v[90:91], v[62:63], v[60:61]
	v_add_f64 v[60:61], v[76:77], v[86:87]
	v_fma_f64 v[62:63], v[181:182], v[62:63], -v[64:65]
	v_fma_f64 v[64:65], v[88:89], -0.5, v[36:37]
	v_add_f64 v[76:77], v[127:128], -v[146:147]
	v_add_f64 v[98:99], v[112:113], v[82:83]
	v_fma_f64 v[80:81], v[80:81], v[152:153], v[84:85]
	v_fma_f64 v[84:85], v[144:145], v[152:153], -v[92:93]
	v_mul_f64 v[88:89], v[185:186], v[150:151]
	v_mul_f64 v[90:91], v[78:79], v[150:151]
	v_add_f64 v[94:95], v[133:134], -v[140:141]
	v_add_f64 v[100:101], v[112:113], -v[86:87]
	v_fma_f64 v[92:93], v[76:77], s[0:1], v[64:65]
	v_add_f64 v[102:103], v[82:83], -v[108:109]
	v_fma_f64 v[35:36], v[98:99], -0.5, v[36:37]
	v_add_f64 v[60:61], v[60:61], v[108:109]
	v_fma_f64 v[78:79], v[78:79], v[148:149], v[88:89]
	v_fma_f64 v[88:89], v[185:186], v[148:149], -v[90:91]
	v_add_f64 v[98:99], v[133:134], v[140:141]
	v_fma_f64 v[64:65], v[76:77], s[6:7], v[64:65]
	v_fma_f64 v[90:91], v[94:95], s[4:5], v[92:93]
	v_add_f64 v[92:93], v[100:101], v[102:103]
	v_fma_f64 v[100:101], v[94:95], s[6:7], v[35:36]
	v_add_f64 v[102:103], v[86:87], -v[112:113]
	v_add_f64 v[104:105], v[108:109], -v[82:83]
	v_add_f64 v[60:61], v[60:61], v[82:83]
	v_fma_f64 v[35:36], v[94:95], s[0:1], v[35:36]
	v_fma_f64 v[98:99], v[98:99], -0.5, v[66:67]
	v_add_f64 v[82:83], v[112:113], -v[82:83]
	v_fma_f64 v[64:65], v[94:95], s[10:11], v[64:65]
	v_fma_f64 v[94:95], v[76:77], s[4:5], v[100:101]
	v_add_f64 v[106:107], v[66:67], v[127:128]
	v_add_f64 v[100:101], v[102:103], v[104:105]
	;; [unrolled: 1-line block ×3, first 2 shown]
	v_fma_f64 v[35:36], v[76:77], s[10:11], v[35:36]
	v_add_f64 v[86:87], v[86:87], -v[108:109]
	v_fma_f64 v[104:105], v[82:83], s[6:7], v[98:99]
	v_fma_f64 v[90:91], v[92:93], s[12:13], v[90:91]
	v_fma_f64 v[64:65], v[92:93], s[12:13], v[64:65]
	v_add_f64 v[76:77], v[106:107], v[133:134]
	v_fma_f64 v[92:93], v[100:101], s[12:13], v[94:95]
	v_fma_f64 v[66:67], v[102:103], -0.5, v[66:67]
	v_fma_f64 v[35:36], v[100:101], s[12:13], v[35:36]
	v_add_f64 v[100:101], v[127:128], -v[133:134]
	v_fma_f64 v[94:95], v[86:87], s[10:11], v[104:105]
	v_add_f64 v[102:103], v[9:10], v[13:14]
	v_add_f64 v[104:105], v[146:147], -v[140:141]
	v_fma_f64 v[98:99], v[82:83], s[0:1], v[98:99]
	v_add_f64 v[108:109], v[133:134], -v[127:128]
	v_fma_f64 v[106:107], v[86:87], s[0:1], v[66:67]
	v_add_f64 v[110:111], v[140:141], -v[146:147]
	v_fma_f64 v[66:67], v[86:87], s[6:7], v[66:67]
	v_add_f64 v[112:113], v[72:73], v[114:115]
	v_add_f64 v[76:77], v[76:77], v[140:141]
	v_fma_f64 v[102:103], v[102:103], -0.5, v[72:73]
	v_add_f64 v[127:128], v[7:8], -v[19:20]
	v_add_f64 v[100:101], v[100:101], v[104:105]
	v_fma_f64 v[86:87], v[86:87], s[4:5], v[98:99]
	v_fma_f64 v[98:99], v[82:83], s[10:11], v[106:107]
	v_add_f64 v[104:105], v[108:109], v[110:111]
	v_fma_f64 v[66:67], v[82:83], s[4:5], v[66:67]
	v_add_f64 v[82:83], v[114:115], v[17:18]
	v_add_f64 v[106:107], v[112:113], v[9:10]
	v_fma_f64 v[108:109], v[127:128], s[0:1], v[102:103]
	v_add_f64 v[110:111], v[11:12], -v[15:16]
	v_add_f64 v[112:113], v[76:77], v[146:147]
	v_fma_f64 v[94:95], v[100:101], s[12:13], v[94:95]
	v_fma_f64 v[86:87], v[100:101], s[12:13], v[86:87]
	;; [unrolled: 1-line block ×3, first 2 shown]
	v_fma_f64 v[72:73], v[82:83], -0.5, v[72:73]
	v_fma_f64 v[66:67], v[104:105], s[12:13], v[66:67]
	v_add_f64 v[76:77], v[106:107], v[13:14]
	v_add_f64 v[100:101], v[114:115], -v[9:10]
	v_add_f64 v[104:105], v[11:12], v[15:16]
	v_add_f64 v[106:107], v[17:18], -v[13:14]
	v_fma_f64 v[102:103], v[127:128], s[6:7], v[102:103]
	v_fma_f64 v[82:83], v[110:111], s[4:5], v[108:109]
	;; [unrolled: 1-line block ×3, first 2 shown]
	v_add_f64 v[129:130], v[9:10], -v[114:115]
	v_add_f64 v[131:132], v[13:14], -v[17:18]
	v_fma_f64 v[72:73], v[110:111], s[0:1], v[72:73]
	v_add_f64 v[133:134], v[156:157], v[7:8]
	v_fma_f64 v[104:105], v[104:105], -0.5, v[156:157]
	v_add_f64 v[114:115], v[114:115], -v[17:18]
	v_add_f64 v[100:101], v[100:101], v[106:107]
	v_fma_f64 v[102:103], v[110:111], s[10:11], v[102:103]
	v_add_f64 v[110:111], v[7:8], v[19:20]
	v_fma_f64 v[106:107], v[127:128], s[4:5], v[108:109]
	;; [unrolled: 2-line block ×4, first 2 shown]
	v_add_f64 v[9:10], v[9:10], -v[13:14]
	v_add_f64 v[13:14], v[76:77], v[17:18]
	v_fma_f64 v[17:18], v[100:101], s[12:13], v[82:83]
	v_fma_f64 v[76:77], v[100:101], s[12:13], v[102:103]
	v_fma_f64 v[100:101], v[110:111], -0.5, v[156:157]
	v_fma_f64 v[82:83], v[108:109], s[12:13], v[106:107]
	v_fma_f64 v[72:73], v[108:109], s[12:13], v[72:73]
	v_add_f64 v[102:103], v[127:128], v[15:16]
	v_fma_f64 v[106:107], v[9:10], s[10:11], v[129:130]
	v_add_f64 v[108:109], v[7:8], -v[11:12]
	v_add_f64 v[110:111], v[21:22], v[27:28]
	v_add_f64 v[127:128], v[19:20], -v[15:16]
	v_fma_f64 v[104:105], v[114:115], s[0:1], v[104:105]
	v_fma_f64 v[129:130], v[9:10], s[0:1], v[100:101]
	v_add_f64 v[7:8], v[11:12], -v[7:8]
	v_add_f64 v[11:12], v[15:16], -v[19:20]
	v_fma_f64 v[15:16], v[9:10], s[6:7], v[100:101]
	v_add_f64 v[100:101], v[74:75], v[96:97]
	v_fma_f64 v[110:111], v[110:111], -0.5, v[74:75]
	v_add_f64 v[131:132], v[23:24], -v[38:39]
	v_add_f64 v[108:109], v[108:109], v[127:128]
	v_fma_f64 v[9:10], v[9:10], s[4:5], v[104:105]
	v_fma_f64 v[104:105], v[114:115], s[10:11], v[129:130]
	v_add_f64 v[7:8], v[7:8], v[11:12]
	v_fma_f64 v[11:12], v[114:115], s[4:5], v[15:16]
	v_add_f64 v[15:16], v[100:101], v[21:22]
	v_add_f64 v[100:101], v[96:97], v[33:34]
	v_fma_f64 v[114:115], v[131:132], s[0:1], v[110:111]
	v_add_f64 v[127:128], v[25:26], -v[29:30]
	v_add_f64 v[102:103], v[102:103], v[19:20]
	v_fma_f64 v[106:107], v[108:109], s[12:13], v[106:107]
	v_fma_f64 v[108:109], v[108:109], s[12:13], v[9:10]
	;; [unrolled: 1-line block ×4, first 2 shown]
	v_fma_f64 v[7:8], v[100:101], -0.5, v[74:75]
	v_add_f64 v[9:10], v[15:16], v[27:28]
	v_add_f64 v[15:16], v[96:97], -v[21:22]
	v_add_f64 v[19:20], v[158:159], v[23:24]
	v_add_f64 v[74:75], v[25:26], v[29:30]
	v_add_f64 v[100:101], v[33:34], -v[27:28]
	v_fma_f64 v[110:111], v[131:132], s[6:7], v[110:111]
	v_fma_f64 v[11:12], v[127:128], s[4:5], v[114:115]
	;; [unrolled: 1-line block ×3, first 2 shown]
	v_add_f64 v[133:134], v[21:22], -v[96:97]
	v_add_f64 v[140:141], v[27:28], -v[33:34]
	v_fma_f64 v[7:8], v[127:128], s[0:1], v[7:8]
	v_add_f64 v[19:20], v[19:20], v[25:26]
	v_fma_f64 v[74:75], v[74:75], -0.5, v[158:159]
	v_add_f64 v[96:97], v[96:97], -v[33:34]
	v_add_f64 v[15:16], v[15:16], v[100:101]
	v_fma_f64 v[100:101], v[127:128], s[10:11], v[110:111]
	v_add_f64 v[127:128], v[23:24], v[38:39]
	v_fma_f64 v[110:111], v[131:132], s[4:5], v[114:115]
	;; [unrolled: 2-line block ×4, first 2 shown]
	v_add_f64 v[21:22], v[21:22], -v[27:28]
	v_add_f64 v[9:10], v[9:10], v[33:34]
	v_fma_f64 v[33:34], v[127:128], -0.5, v[158:159]
	v_add_f64 v[127:128], v[68:69], v[31:32]
	v_fma_f64 v[11:12], v[15:16], s[12:13], v[11:12]
	v_fma_f64 v[15:16], v[15:16], s[12:13], v[100:101]
	;; [unrolled: 1-line block ×4, first 2 shown]
	v_add_f64 v[100:101], v[19:20], v[38:39]
	v_fma_f64 v[19:20], v[21:22], s[10:11], v[131:132]
	v_add_f64 v[110:111], v[23:24], -v[25:26]
	v_add_f64 v[114:115], v[38:39], -v[29:30]
	v_fma_f64 v[74:75], v[96:97], s[0:1], v[74:75]
	v_add_f64 v[131:132], v[42:43], v[46:47]
	v_fma_f64 v[133:134], v[21:22], s[0:1], v[33:34]
	v_add_f64 v[23:24], v[25:26], -v[23:24]
	v_add_f64 v[25:26], v[29:30], -v[38:39]
	v_fma_f64 v[29:30], v[21:22], s[6:7], v[33:34]
	v_add_f64 v[37:38], v[127:128], v[42:43]
	v_add_f64 v[33:34], v[110:111], v[114:115]
	v_fma_f64 v[21:22], v[21:22], s[4:5], v[74:75]
	v_fma_f64 v[74:75], v[131:132], -0.5, v[68:69]
	v_add_f64 v[110:111], v[40:41], -v[54:55]
	v_fma_f64 v[114:115], v[96:97], s[10:11], v[133:134]
	v_add_f64 v[23:24], v[23:24], v[25:26]
	v_fma_f64 v[25:26], v[96:97], s[4:5], v[29:30]
	v_add_f64 v[29:30], v[31:32], v[52:53]
	v_add_f64 v[37:38], v[37:38], v[46:47]
	v_fma_f64 v[96:97], v[33:34], s[12:13], v[19:20]
	v_fma_f64 v[127:128], v[33:34], s[12:13], v[21:22]
	;; [unrolled: 1-line block ×3, first 2 shown]
	v_add_f64 v[21:22], v[44:45], -v[48:49]
	v_fma_f64 v[114:115], v[23:24], s[12:13], v[114:115]
	v_fma_f64 v[131:132], v[23:24], s[12:13], v[25:26]
	v_fma_f64 v[23:24], v[29:30], -0.5, v[68:69]
	v_add_f64 v[25:26], v[37:38], v[52:53]
	v_add_f64 v[29:30], v[31:32], -v[42:43]
	v_add_f64 v[33:34], v[52:53], -v[46:47]
	v_fma_f64 v[37:38], v[110:111], s[6:7], v[74:75]
	v_fma_f64 v[19:20], v[21:22], s[4:5], v[19:20]
	v_add_f64 v[68:69], v[0:1], v[40:41]
	v_add_f64 v[74:75], v[44:45], v[48:49]
	v_fma_f64 v[133:134], v[21:22], s[6:7], v[23:24]
	v_add_f64 v[140:141], v[42:43], -v[31:32]
	v_add_f64 v[142:143], v[46:47], -v[52:53]
	v_add_f64 v[29:30], v[29:30], v[33:34]
	v_fma_f64 v[33:34], v[21:22], s[10:11], v[37:38]
	v_fma_f64 v[21:22], v[21:22], s[0:1], v[23:24]
	v_add_f64 v[23:24], v[68:69], v[44:45]
	v_fma_f64 v[37:38], v[74:75], -0.5, v[0:1]
	v_add_f64 v[31:32], v[31:32], -v[52:53]
	v_fma_f64 v[52:53], v[110:111], s[4:5], v[133:134]
	v_add_f64 v[68:69], v[140:141], v[142:143]
	v_fma_f64 v[19:20], v[29:30], s[12:13], v[19:20]
	v_fma_f64 v[29:30], v[29:30], s[12:13], v[33:34]
	v_add_f64 v[33:34], v[40:41], v[54:55]
	v_fma_f64 v[21:22], v[110:111], s[10:11], v[21:22]
	v_add_f64 v[42:43], v[42:43], -v[46:47]
	v_add_f64 v[110:111], v[40:41], -v[44:45]
	;; [unrolled: 1-line block ×3, first 2 shown]
	v_add_f64 v[23:24], v[23:24], v[48:49]
	v_fma_f64 v[74:75], v[31:32], s[6:7], v[37:38]
	v_fma_f64 v[46:47], v[68:69], s[12:13], v[52:53]
	v_fma_f64 v[0:1], v[33:34], -0.5, v[0:1]
	v_add_f64 v[33:34], v[70:71], v[50:51]
	v_add_f64 v[52:53], v[58:59], v[80:81]
	v_fma_f64 v[37:38], v[31:32], s[0:1], v[37:38]
	v_add_f64 v[110:111], v[110:111], v[133:134]
	v_add_f64 v[39:40], v[44:45], -v[40:41]
	v_add_f64 v[44:45], v[48:49], -v[54:55]
	v_fma_f64 v[21:22], v[68:69], s[12:13], v[21:22]
	v_fma_f64 v[133:134], v[42:43], s[0:1], v[0:1]
	;; [unrolled: 1-line block ×3, first 2 shown]
	v_add_f64 v[33:34], v[33:34], v[58:59]
	v_add_f64 v[68:69], v[23:24], v[54:55]
	v_fma_f64 v[23:24], v[42:43], s[10:11], v[74:75]
	v_fma_f64 v[52:53], v[52:53], -0.5, v[70:71]
	v_add_f64 v[74:75], v[56:57], -v[88:89]
	v_add_f64 v[140:141], v[50:51], -v[58:59]
	;; [unrolled: 1-line block ×3, first 2 shown]
	v_fma_f64 v[37:38], v[42:43], s[4:5], v[37:38]
	v_add_f64 v[41:42], v[50:51], v[78:79]
	v_fma_f64 v[133:134], v[31:32], s[10:11], v[133:134]
	v_add_f64 v[39:40], v[39:40], v[44:45]
	;; [unrolled: 2-line block ×3, first 2 shown]
	v_fma_f64 v[48:49], v[74:75], s[0:1], v[52:53]
	v_add_f64 v[54:55], v[62:63], -v[84:85]
	v_add_f64 v[43:44], v[140:141], v[142:143]
	v_fma_f64 v[140:141], v[110:111], s[12:13], v[23:24]
	v_fma_f64 v[23:24], v[41:42], -0.5, v[70:71]
	v_fma_f64 v[37:38], v[110:111], s[12:13], v[37:38]
	v_fma_f64 v[41:42], v[39:40], s[12:13], v[133:134]
	;; [unrolled: 1-line block ×3, first 2 shown]
	v_add_f64 v[0:1], v[31:32], v[78:79]
	v_add_f64 v[31:32], v[62:63], v[84:85]
	;; [unrolled: 1-line block ×3, first 2 shown]
	v_fma_f64 v[33:34], v[54:55], s[4:5], v[48:49]
	v_fma_f64 v[48:49], v[74:75], s[6:7], v[52:53]
	v_add_f64 v[70:71], v[58:59], -v[50:51]
	v_add_f64 v[133:134], v[80:81], -v[78:79]
	v_add_f64 v[142:143], v[2:3], v[56:57]
	v_add_f64 v[50:51], v[50:51], -v[78:79]
	v_fma_f64 v[31:32], v[31:32], -0.5, v[2:3]
	v_add_f64 v[58:59], v[58:59], -v[80:81]
	v_fma_f64 v[2:3], v[110:111], -0.5, v[2:3]
	v_fma_f64 v[52:53], v[54:55], s[6:7], v[23:24]
	v_fma_f64 v[48:49], v[54:55], s[10:11], v[48:49]
	v_add_f64 v[70:71], v[70:71], v[133:134]
	v_fma_f64 v[23:24], v[54:55], s[0:1], v[23:24]
	v_add_f64 v[54:55], v[142:143], v[62:63]
	v_fma_f64 v[78:79], v[50:51], s[6:7], v[31:32]
	v_add_f64 v[80:81], v[56:57], -v[62:63]
	v_add_f64 v[110:111], v[88:89], -v[84:85]
	v_fma_f64 v[31:32], v[50:51], s[0:1], v[31:32]
	v_fma_f64 v[133:134], v[58:59], s[0:1], v[2:3]
	v_add_f64 v[56:57], v[62:63], -v[56:57]
	v_add_f64 v[62:63], v[84:85], -v[88:89]
	v_fma_f64 v[2:3], v[58:59], s[6:7], v[2:3]
	v_fma_f64 v[52:53], v[74:75], s[4:5], v[52:53]
	;; [unrolled: 1-line block ×3, first 2 shown]
	v_add_f64 v[54:55], v[54:55], v[84:85]
	v_fma_f64 v[74:75], v[58:59], s[10:11], v[78:79]
	v_add_f64 v[78:79], v[80:81], v[110:111]
	v_fma_f64 v[31:32], v[58:59], s[4:5], v[31:32]
	;; [unrolled: 2-line block ×3, first 2 shown]
	v_fma_f64 v[33:34], v[43:44], s[12:13], v[33:34]
	v_fma_f64 v[58:59], v[50:51], s[10:11], v[133:134]
	;; [unrolled: 1-line block ×5, first 2 shown]
	v_add_f64 v[52:53], v[54:55], v[88:89]
	v_fma_f64 v[54:55], v[78:79], s[12:13], v[74:75]
	v_fma_f64 v[62:63], v[78:79], s[12:13], v[31:32]
	;; [unrolled: 1-line block ×3, first 2 shown]
	v_mov_b32_e32 v2, 3
	v_lshlrev_b32_sdwa v3, v2, v4 dst_sel:DWORD dst_unused:UNUSED_PAD src0_sel:DWORD src1_sel:BYTE_0
	ds_write2_b64 v121, v[60:61], v[90:91] offset1:17
	ds_write2_b64 v121, v[92:93], v[35:36] offset0:34 offset1:51
	ds_write2_b64 v121, v[64:65], v[13:14] offset0:68 offset1:85
	;; [unrolled: 1-line block ×4, first 2 shown]
	v_add3_u32 v36, 0, v3, v174
	v_lshlrev_b32_sdwa v3, v2, v5 dst_sel:DWORD dst_unused:UNUSED_PAD src0_sel:DWORD src1_sel:BYTE_0
	v_add3_u32 v45, 0, v3, v174
	v_add_u32_e32 v60, 0x400, v45
	v_add_u32_e32 v61, 0x800, v45
	v_lshlrev_b32_sdwa v2, v2, v6 dst_sel:DWORD dst_unused:UNUSED_PAD src0_sel:DWORD src1_sel:BYTE_0
	ds_write2_b64 v36, v[9:10], v[11:12] offset0:170 offset1:187
	ds_write2_b64 v36, v[27:28], v[7:8] offset0:204 offset1:221
	ds_write_b64 v36, v[15:16] offset:1904
	ds_write2_b64 v60, v[25:26], v[19:20] offset0:127 offset1:144
	ds_write2_b64 v61, v[46:47], v[21:22] offset0:33 offset1:50
	ds_write_b64 v45, v[29:30] offset:2584
	v_add3_u32 v46, 0, v2, v174
	v_add_u32_e32 v47, 0x800, v46
	v_fma_f64 v[70:71], v[56:57], s[12:13], v[58:59]
	ds_write2_b64 v47, v[0:1], v[33:34] offset0:84 offset1:101
	ds_write2_b64 v47, v[48:49], v[23:24] offset0:118 offset1:135
	ds_write_b64 v46, v[43:44] offset:3264
	s_waitcnt lgkmcnt(0)
	; wave barrier
	s_waitcnt lgkmcnt(0)
	ds_read_b64 v[76:77], v120
	ds_read2_b64 v[0:3], v121 offset0:85 offset1:102
	ds_read2_b64 v[12:15], v121 offset0:153 offset1:170
	;; [unrolled: 1-line block ×12, first 2 shown]
	s_waitcnt lgkmcnt(0)
	; wave barrier
	s_waitcnt lgkmcnt(0)
	ds_write2_b64 v121, v[112:113], v[94:95] offset1:17
	ds_write2_b64 v121, v[98:99], v[66:67] offset0:34 offset1:51
	ds_write2_b64 v121, v[86:87], v[102:103] offset0:68 offset1:85
	;; [unrolled: 1-line block ×6, first 2 shown]
	ds_write_b64 v36, v[127:128] offset:1904
	ds_write2_b64 v60, v[68:69], v[140:141] offset0:127 offset1:144
	ds_write2_b64 v61, v[41:42], v[39:40] offset0:33 offset1:50
	ds_write_b64 v45, v[37:38] offset:2584
	ds_write2_b64 v47, v[52:53], v[54:55] offset0:84 offset1:101
	ds_write2_b64 v47, v[70:71], v[78:79] offset0:118 offset1:135
	ds_write_b64 v46, v[62:63] offset:3264
	s_waitcnt lgkmcnt(0)
	; wave barrier
	s_waitcnt lgkmcnt(0)
	s_and_saveexec_b64 s[14:15], vcc
	s_cbranch_execz .LBB0_18
; %bb.17:
	v_lshlrev_b32_e32 v116, 2, v124
	v_lshlrev_b64 v[36:37], 4, v[116:117]
	v_mov_b32_e32 v60, s9
	v_add_co_u32_e32 v61, vcc, s8, v36
	v_addc_co_u32_e32 v62, vcc, v60, v37, vcc
	global_load_dwordx4 v[36:39], v[61:62], off offset:1136
	global_load_dwordx4 v[40:43], v[61:62], off offset:1120
	;; [unrolled: 1-line block ×4, first 2 shown]
	v_lshlrev_b32_e32 v116, 2, v123
	v_lshlrev_b64 v[61:62], 4, v[116:117]
	v_lshlrev_b32_e32 v116, 2, v122
	v_add_co_u32_e32 v61, vcc, s8, v61
	v_addc_co_u32_e32 v62, vcc, v60, v62, vcc
	global_load_dwordx4 v[78:81], v[61:62], off offset:1104
	global_load_dwordx4 v[82:85], v[61:62], off offset:1088
	;; [unrolled: 1-line block ×4, first 2 shown]
	v_lshlrev_b64 v[66:67], 4, v[116:117]
	ds_read2_b64 v[94:97], v121 offset0:221 offset1:238
	ds_read2_b64 v[62:65], v121 offset0:153 offset1:170
	v_add_co_u32_e32 v66, vcc, s8, v66
	v_add_u32_e32 v135, 0x800, v121
	ds_read2_b64 v[98:101], v121 offset0:51 offset1:68
	ds_read2_b64 v[102:105], v121 offset0:119 offset1:136
	;; [unrolled: 1-line block ×5, first 2 shown]
	v_addc_co_u32_e32 v67, vcc, v60, v67, vcc
	global_load_dwordx4 v[125:128], v[66:67], off offset:1136
	global_load_dwordx4 v[129:132], v[66:67], off offset:1120
	;; [unrolled: 1-line block ×4, first 2 shown]
	v_lshlrev_b32_e32 v116, 2, v137
	v_mov_b32_e32 v137, v117
	s_waitcnt vmcnt(11)
	v_mul_f64 v[148:149], v[26:27], v[38:39]
	s_waitcnt vmcnt(10)
	v_mul_f64 v[133:134], v[4:5], v[42:43]
	;; [unrolled: 2-line block ×4, first 2 shown]
	s_waitcnt lgkmcnt(6)
	v_mul_f64 v[46:47], v[96:97], v[46:47]
	s_waitcnt lgkmcnt(2)
	v_mul_f64 v[42:43], v[68:69], v[42:43]
	v_mul_f64 v[54:55], v[62:63], v[54:55]
	s_waitcnt lgkmcnt(1)
	v_mul_f64 v[38:39], v[108:109], v[38:39]
	s_waitcnt vmcnt(7)
	v_mul_f64 v[150:151], v[32:33], v[80:81]
	s_waitcnt vmcnt(6)
	;; [unrolled: 2-line block ×4, first 2 shown]
	v_mul_f64 v[156:157], v[24:25], v[92:93]
	v_mul_f64 v[84:85], v[104:105], v[84:85]
	;; [unrolled: 1-line block ×3, first 2 shown]
	v_fma_f64 v[66:67], v[96:97], v[44:45], -v[66:67]
	v_fma_f64 v[61:62], v[62:63], v[52:53], -v[114:115]
	;; [unrolled: 1-line block ×4, first 2 shown]
	v_fma_f64 v[34:35], v[34:35], v[44:45], v[46:47]
	v_fma_f64 v[4:5], v[4:5], v[40:41], v[42:43]
	;; [unrolled: 1-line block ×4, first 2 shown]
	v_mul_f64 v[80:81], v[94:95], v[80:81]
	s_waitcnt lgkmcnt(0)
	v_mul_f64 v[88:89], v[112:113], v[88:89]
	v_fma_f64 v[52:53], v[94:95], v[78:79], -v[150:151]
	v_fma_f64 v[54:55], v[104:105], v[82:83], -v[152:153]
	;; [unrolled: 1-line block ×4, first 2 shown]
	v_fma_f64 v[108:109], v[50:51], v[82:83], v[84:85]
	v_fma_f64 v[112:113], v[24:25], v[90:91], v[92:93]
	v_add_f64 v[24:25], v[66:67], -v[61:62]
	v_add_f64 v[26:27], v[68:69], -v[96:97]
	v_add_f64 v[36:37], v[61:62], v[96:97]
	v_add_f64 v[42:43], v[61:62], -v[66:67]
	v_add_f64 v[44:45], v[96:97], -v[68:69]
	v_add_f64 v[46:47], v[66:67], v[68:69]
	v_add_f64 v[50:51], v[61:62], v[100:101]
	;; [unrolled: 1-line block ×4, first 2 shown]
	v_fma_f64 v[106:107], v[32:33], v[78:79], v[80:81]
	v_fma_f64 v[74:75], v[74:75], v[86:87], v[88:89]
	v_add_f64 v[32:33], v[34:35], -v[4:5]
	v_add_f64 v[38:39], v[12:13], -v[40:41]
	;; [unrolled: 1-line block ×7, first 2 shown]
	v_add_f64 v[12:13], v[58:59], v[12:13]
	v_add_f64 v[24:25], v[24:25], v[26:27]
	v_fma_f64 v[26:27], v[36:37], -0.5, v[100:101]
	v_add_f64 v[36:37], v[42:43], v[44:45]
	v_fma_f64 v[42:43], v[46:47], -0.5, v[100:101]
	;; [unrolled: 2-line block ×3, first 2 shown]
	v_fma_f64 v[58:59], v[90:91], -0.5, v[58:59]
	v_add_f64 v[88:89], v[40:41], -v[4:5]
	v_add_f64 v[50:51], v[78:79], v[80:81]
	v_add_f64 v[12:13], v[34:35], v[12:13]
	v_fma_f64 v[34:35], v[32:33], s[6:7], v[26:27]
	v_fma_f64 v[26:27], v[32:33], s[0:1], v[26:27]
	;; [unrolled: 1-line block ×4, first 2 shown]
	v_add_f64 v[44:45], v[68:69], v[44:45]
	v_fma_f64 v[68:69], v[84:85], s[0:1], v[46:47]
	v_fma_f64 v[46:47], v[84:85], s[6:7], v[46:47]
	v_fma_f64 v[82:83], v[61:62], s[6:7], v[58:59]
	v_fma_f64 v[58:59], v[61:62], s[0:1], v[58:59]
	v_add_f64 v[148:149], v[54:55], v[104:105]
	v_add_f64 v[152:153], v[52:53], v[94:95]
	;; [unrolled: 1-line block ×3, first 2 shown]
	v_fma_f64 v[26:27], v[38:39], s[10:11], v[26:27]
	v_fma_f64 v[80:81], v[32:33], s[4:5], v[80:81]
	;; [unrolled: 1-line block ×3, first 2 shown]
	v_add_f64 v[42:43], v[96:97], v[44:45]
	v_fma_f64 v[44:45], v[61:62], s[10:11], v[68:69]
	v_fma_f64 v[61:62], v[61:62], s[4:5], v[46:47]
	;; [unrolled: 1-line block ×3, first 2 shown]
	v_add_f64 v[92:93], v[52:53], -v[54:55]
	v_add_f64 v[114:115], v[94:95], -v[104:105]
	;; [unrolled: 1-line block ×4, first 2 shown]
	v_fma_f64 v[78:79], v[148:149], -0.5, v[98:99]
	v_add_f64 v[4:5], v[12:13], v[4:5]
	v_fma_f64 v[34:35], v[38:39], s[4:5], v[34:35]
	v_fma_f64 v[68:69], v[84:85], s[10:11], v[82:83]
	;; [unrolled: 1-line block ×8, first 2 shown]
	v_add_f64 v[58:59], v[108:109], v[112:113]
	v_fma_f64 v[61:62], v[152:153], -0.5, v[98:99]
	v_fma_f64 v[12:13], v[133:134], s[6:7], v[78:79]
	v_fma_f64 v[34:35], v[24:25], s[12:13], v[34:35]
	v_fma_f64 v[24:25], v[66:67], s[12:13], v[68:69]
	v_fma_f64 v[50:51], v[133:134], s[0:1], v[78:79]
	v_add_f64 v[40:41], v[4:5], v[40:41]
	v_add_f64 v[4:5], v[92:93], v[114:115]
	;; [unrolled: 1-line block ×3, first 2 shown]
	v_add_f64 v[68:69], v[54:55], -v[52:53]
	v_fma_f64 v[78:79], v[58:59], -0.5, v[56:57]
	v_add_f64 v[114:115], v[52:53], -v[94:95]
	v_add_f64 v[58:59], v[104:105], -v[94:95]
	v_fma_f64 v[80:81], v[150:151], s[0:1], v[61:62]
	v_fma_f64 v[12:13], v[150:151], s[4:5], v[12:13]
	;; [unrolled: 1-line block ×3, first 2 shown]
	v_add_f64 v[52:53], v[52:53], v[66:67]
	v_add_f64 v[66:67], v[106:107], -v[108:109]
	v_add_f64 v[82:83], v[74:75], -v[112:113]
	;; [unrolled: 1-line block ×3, first 2 shown]
	v_fma_f64 v[84:85], v[114:115], s[0:1], v[78:79]
	v_add_f64 v[68:69], v[68:69], v[58:59]
	v_fma_f64 v[80:81], v[133:134], s[4:5], v[80:81]
	v_fma_f64 v[61:62], v[150:151], s[6:7], v[61:62]
	;; [unrolled: 1-line block ×4, first 2 shown]
	v_add_f64 v[4:5], v[66:67], v[82:83]
	v_fma_f64 v[66:67], v[114:115], s[6:7], v[78:79]
	v_fma_f64 v[12:13], v[148:149], s[10:11], v[84:85]
	v_add_f64 v[86:87], v[106:107], v[74:75]
	v_fma_f64 v[50:51], v[68:69], s[12:13], v[80:81]
	ds_read2_b64 v[78:81], v135 offset0:101 offset1:118
	ds_read2_b64 v[82:85], v121 offset0:187 offset1:204
	v_fma_f64 v[61:62], v[133:134], s[10:11], v[61:62]
	v_add_f64 v[52:53], v[94:95], v[52:53]
	s_waitcnt vmcnt(0)
	v_mul_f64 v[88:89], v[48:49], v[146:147]
	v_mul_f64 v[90:91], v[22:23], v[127:128]
	s_waitcnt lgkmcnt(0)
	v_mul_f64 v[98:99], v[84:85], v[142:143]
	v_mul_f64 v[100:101], v[110:111], v[131:132]
	v_fma_f64 v[133:134], v[86:87], -0.5, v[56:57]
	v_lshlrev_b64 v[86:87], 4, v[116:117]
	v_fma_f64 v[62:63], v[68:69], s[12:13], v[61:62]
	v_add_f64 v[68:69], v[104:105], v[52:53]
	v_add_co_u32_e32 v104, vcc, s8, v86
	v_addc_co_u32_e32 v105, vcc, v60, v87, vcc
	v_fma_f64 v[150:151], v[102:103], v[144:145], -v[88:89]
	v_fma_f64 v[152:153], v[80:81], v[125:126], -v[90:91]
	global_load_dwordx4 v[86:89], v[104:105], off offset:1104
	global_load_dwordx4 v[90:93], v[104:105], off offset:1088
	;; [unrolled: 1-line block ×3, first 2 shown]
	v_fma_f64 v[154:155], v[30:31], v[140:141], v[98:99]
	v_fma_f64 v[156:157], v[72:73], v[129:130], v[100:101]
	global_load_dwordx4 v[98:101], v[104:105], off offset:1120
	v_mul_f64 v[60:61], v[30:31], v[142:143]
	v_mul_f64 v[131:132], v[72:73], v[131:132]
	v_add_f64 v[30:31], v[150:151], v[152:153]
	v_mul_f64 v[72:73], v[102:103], v[146:147]
	v_mul_f64 v[80:81], v[80:81], v[127:128]
	ds_read2_b64 v[102:105], v121 offset0:17 offset1:34
	v_fma_f64 v[52:53], v[4:5], s[12:13], v[12:13]
	v_fma_f64 v[12:13], v[148:149], s[4:5], v[66:67]
	v_add_f64 v[66:67], v[108:109], -v[106:107]
	v_add_f64 v[56:57], v[56:57], v[108:109]
	v_fma_f64 v[84:85], v[84:85], v[140:141], -v[60:61]
	v_fma_f64 v[108:109], v[110:111], v[129:130], -v[131:132]
	v_add_f64 v[110:111], v[154:155], -v[156:157]
	s_waitcnt lgkmcnt(0)
	v_fma_f64 v[30:31], v[30:31], -0.5, v[104:105]
	v_fma_f64 v[129:130], v[48:49], v[144:145], v[72:73]
	v_fma_f64 v[80:81], v[22:23], v[125:126], v[80:81]
	v_add_f64 v[22:23], v[112:113], -v[74:75]
	v_fma_f64 v[48:49], v[148:149], s[6:7], v[133:134]
	v_fma_f64 v[60:61], v[148:149], s[0:1], v[133:134]
	v_add_f64 v[56:57], v[106:107], v[56:57]
	v_add_f64 v[72:73], v[84:85], -v[150:151]
	v_add_f64 v[106:107], v[108:109], -v[152:153]
	v_fma_f64 v[125:126], v[110:111], s[6:7], v[30:31]
	v_add_f64 v[127:128], v[129:130], -v[80:81]
	v_add_f64 v[22:23], v[66:67], v[22:23]
	v_fma_f64 v[30:31], v[110:111], s[0:1], v[30:31]
	v_fma_f64 v[48:49], v[114:115], s[10:11], v[48:49]
	;; [unrolled: 1-line block ×3, first 2 shown]
	v_add_f64 v[66:67], v[84:85], v[108:109]
	v_add_f64 v[74:75], v[56:57], v[74:75]
	v_add_f64 v[72:73], v[72:73], v[106:107]
	v_fma_f64 v[106:107], v[127:128], s[4:5], v[125:126]
	v_fma_f64 v[56:57], v[4:5], s[12:13], v[12:13]
	;; [unrolled: 1-line block ×5, first 2 shown]
	v_fma_f64 v[12:13], v[66:67], -0.5, v[104:105]
	v_add_f64 v[22:23], v[129:130], v[80:81]
	v_add_f64 v[30:31], v[150:151], v[104:105]
	;; [unrolled: 1-line block ×3, first 2 shown]
	v_fma_f64 v[74:75], v[72:73], s[12:13], v[106:107]
	v_fma_f64 v[4:5], v[72:73], s[12:13], v[4:5]
	v_add_f64 v[72:73], v[150:151], -v[84:85]
	v_add_f64 v[104:105], v[152:153], -v[108:109]
	v_fma_f64 v[106:107], v[127:128], s[0:1], v[12:13]
	v_fma_f64 v[22:23], v[22:23], -0.5, v[10:11]
	v_add_f64 v[133:134], v[84:85], -v[108:109]
	v_fma_f64 v[12:13], v[127:128], s[6:7], v[12:13]
	v_add_f64 v[30:31], v[84:85], v[30:31]
	v_add_f64 v[84:85], v[154:155], -v[129:130]
	v_add_f64 v[112:113], v[156:157], -v[80:81]
	v_add_f64 v[114:115], v[154:155], v[156:157]
	v_add_f64 v[72:73], v[72:73], v[104:105]
	v_add_f64 v[131:132], v[150:151], -v[152:153]
	v_fma_f64 v[125:126], v[133:134], s[0:1], v[22:23]
	v_fma_f64 v[127:128], v[110:111], s[4:5], v[106:107]
	;; [unrolled: 1-line block ×3, first 2 shown]
	v_add_f64 v[30:31], v[108:109], v[30:31]
	v_add_f64 v[84:85], v[84:85], v[112:113]
	v_fma_f64 v[142:143], v[114:115], -0.5, v[10:11]
	global_load_dwordx4 v[104:107], v[118:119], off offset:1104
	global_load_dwordx4 v[108:111], v[118:119], off offset:1088
	global_load_dwordx4 v[112:115], v[118:119], off offset:1136
	v_fma_f64 v[144:145], v[131:132], s[10:11], v[125:126]
	v_fma_f64 v[12:13], v[72:73], s[12:13], v[127:128]
	global_load_dwordx4 v[125:128], v[118:119], off offset:1120
	v_fma_f64 v[146:147], v[133:134], s[6:7], v[22:23]
	v_add_f64 v[148:149], v[129:130], -v[154:155]
	v_add_f64 v[150:151], v[80:81], -v[156:157]
	v_fma_f64 v[158:159], v[131:132], s[6:7], v[142:143]
	v_fma_f64 v[22:23], v[72:73], s[12:13], v[140:141]
	v_add_f64 v[30:31], v[152:153], v[30:31]
	v_fma_f64 v[72:73], v[84:85], s[12:13], v[144:145]
	v_add_f64 v[10:11], v[10:11], v[129:130]
	v_fma_f64 v[118:119], v[131:132], s[4:5], v[146:147]
	s_waitcnt vmcnt(7)
	v_mul_f64 v[152:153], v[28:29], v[88:89]
	v_add_f64 v[144:145], v[148:149], v[150:151]
	v_fma_f64 v[146:147], v[133:134], s[10:11], v[158:159]
	v_fma_f64 v[148:149], v[131:132], s[0:1], v[142:143]
	s_waitcnt vmcnt(6)
	v_mul_f64 v[150:151], v[2:3], v[92:93]
	s_waitcnt vmcnt(5)
	v_mul_f64 v[158:159], v[20:21], v[96:97]
	;; [unrolled: 2-line block ×3, first 2 shown]
	v_add_u32_e32 v116, 0x400, v121
	ds_read2_b64 v[129:132], v121 offset0:85 offset1:102
	ds_read2_b64 v[140:143], v116 offset0:127 offset1:144
	v_mul_f64 v[88:89], v[82:83], v[88:89]
	v_fma_f64 v[133:134], v[133:134], s[4:5], v[148:149]
	v_add_f64 v[10:11], v[154:155], v[10:11]
	s_waitcnt lgkmcnt(1)
	v_fma_f64 v[148:149], v[131:132], v[90:91], -v[150:151]
	s_waitcnt lgkmcnt(0)
	v_mul_f64 v[100:101], v[142:143], v[100:101]
	v_fma_f64 v[150:151], v[78:79], v[94:95], -v[158:159]
	v_fma_f64 v[82:83], v[82:83], v[86:87], -v[152:153]
	;; [unrolled: 1-line block ×3, first 2 shown]
	v_mul_f64 v[92:93], v[131:132], v[92:93]
	v_mul_f64 v[78:79], v[78:79], v[96:97]
	v_fma_f64 v[86:87], v[28:29], v[86:87], v[88:89]
	v_add_f64 v[28:29], v[10:11], v[156:157]
	v_fma_f64 v[96:97], v[18:19], v[98:99], v[100:101]
	v_add_f64 v[18:19], v[148:149], v[150:151]
	v_add_f64 v[88:89], v[82:83], -v[148:149]
	v_add_f64 v[98:99], v[142:143], -v[150:151]
	v_fma_f64 v[90:91], v[2:3], v[90:91], v[92:93]
	v_fma_f64 v[94:95], v[20:21], v[94:95], v[78:79]
	v_add_f64 v[78:79], v[82:83], v[142:143]
	v_fma_f64 v[2:3], v[84:85], s[12:13], v[118:119]
	v_add_f64 v[92:93], v[86:87], -v[96:97]
	v_fma_f64 v[18:19], v[18:19], -0.5, v[102:103]
	v_add_f64 v[28:29], v[28:29], v[80:81]
	v_add_f64 v[84:85], v[88:89], v[98:99]
	v_fma_f64 v[20:21], v[144:145], s[12:13], v[133:134]
	v_add_f64 v[80:81], v[90:91], -v[94:95]
	v_fma_f64 v[78:79], v[78:79], -0.5, v[102:103]
	v_add_f64 v[98:99], v[90:91], v[94:95]
	v_add_f64 v[102:103], v[148:149], v[102:103]
	v_fma_f64 v[88:89], v[92:93], s[6:7], v[18:19]
	v_fma_f64 v[18:19], v[92:93], s[0:1], v[18:19]
	v_add_f64 v[100:101], v[148:149], -v[82:83]
	v_add_f64 v[118:119], v[150:151], -v[142:143]
	v_add_f64 v[133:134], v[82:83], -v[142:143]
	v_fma_f64 v[131:132], v[80:81], s[0:1], v[78:79]
	v_fma_f64 v[78:79], v[80:81], s[6:7], v[78:79]
	v_fma_f64 v[98:99], v[98:99], -0.5, v[8:9]
	v_add_f64 v[82:83], v[82:83], v[102:103]
	v_fma_f64 v[10:11], v[144:145], s[12:13], v[146:147]
	v_fma_f64 v[88:89], v[80:81], s[4:5], v[88:89]
	;; [unrolled: 1-line block ×3, first 2 shown]
	v_add_f64 v[100:101], v[100:101], v[118:119]
	v_fma_f64 v[102:103], v[92:93], s[4:5], v[131:132]
	v_fma_f64 v[78:79], v[92:93], s[10:11], v[78:79]
	v_add_f64 v[92:93], v[86:87], -v[90:91]
	v_add_f64 v[118:119], v[96:97], -v[94:95]
	;; [unrolled: 1-line block ×3, first 2 shown]
	v_fma_f64 v[144:145], v[133:134], s[0:1], v[98:99]
	v_add_f64 v[82:83], v[142:143], v[82:83]
	v_fma_f64 v[80:81], v[84:85], s[12:13], v[88:89]
	v_fma_f64 v[18:19], v[84:85], s[12:13], v[18:19]
	;; [unrolled: 1-line block ×4, first 2 shown]
	v_add_f64 v[100:101], v[92:93], v[118:119]
	v_add_f64 v[78:79], v[86:87], v[96:97]
	v_fma_f64 v[102:103], v[131:132], s[10:11], v[144:145]
	s_waitcnt vmcnt(2)
	v_mul_f64 v[118:119], v[0:1], v[110:111]
	v_add_f64 v[92:93], v[150:151], v[82:83]
	v_fma_f64 v[82:83], v[133:134], s[6:7], v[98:99]
	s_waitcnt vmcnt(1)
	v_mul_f64 v[98:99], v[6:7], v[114:115]
	s_waitcnt vmcnt(0)
	v_mul_f64 v[148:149], v[140:141], v[127:128]
	v_add_f64 v[142:143], v[90:91], -v[86:87]
	v_fma_f64 v[146:147], v[78:79], -0.5, v[8:9]
	v_fma_f64 v[78:79], v[100:101], s[12:13], v[102:103]
	v_fma_f64 v[102:103], v[129:130], v[108:109], -v[118:119]
	v_mul_f64 v[118:119], v[64:65], v[106:107]
	v_add_f64 v[144:145], v[94:95], -v[96:97]
	v_fma_f64 v[98:99], v[70:71], v[112:113], -v[98:99]
	v_mul_f64 v[106:107], v[14:15], v[106:107]
	v_mul_f64 v[127:128], v[16:17], v[127:128]
	;; [unrolled: 1-line block ×4, first 2 shown]
	v_add_f64 v[8:9], v[8:9], v[90:91]
	v_fma_f64 v[14:15], v[14:15], v[104:105], v[118:119]
	v_fma_f64 v[118:119], v[16:17], v[125:126], v[148:149]
	v_add_f64 v[16:17], v[102:103], v[98:99]
	ds_read_b64 v[114:115], v120
	v_add_f64 v[142:143], v[142:143], v[144:145]
	v_fma_f64 v[144:145], v[131:132], s[6:7], v[146:147]
	v_fma_f64 v[64:65], v[64:65], v[104:105], -v[106:107]
	v_fma_f64 v[104:105], v[140:141], v[125:126], -v[127:128]
	v_fma_f64 v[0:1], v[0:1], v[108:109], v[110:111]
	v_add_f64 v[106:107], v[14:15], -v[118:119]
	s_waitcnt lgkmcnt(0)
	v_fma_f64 v[16:17], v[16:17], -0.5, v[114:115]
	v_fma_f64 v[70:71], v[6:7], v[112:113], v[70:71]
	v_fma_f64 v[6:7], v[131:132], s[0:1], v[146:147]
	v_add_f64 v[8:9], v[86:87], v[8:9]
	v_fma_f64 v[82:83], v[131:132], s[4:5], v[82:83]
	v_fma_f64 v[86:87], v[133:134], s[10:11], v[144:145]
	v_add_f64 v[90:91], v[64:65], -v[102:103]
	v_add_f64 v[108:109], v[104:105], -v[98:99]
	v_add_f64 v[110:111], v[64:65], v[104:105]
	v_add_f64 v[120:121], v[0:1], -v[70:71]
	v_fma_f64 v[6:7], v[133:134], s[4:5], v[6:7]
	v_add_f64 v[8:9], v[8:9], v[96:97]
	v_fma_f64 v[96:97], v[106:107], s[0:1], v[16:17]
	v_fma_f64 v[112:113], v[106:107], s[6:7], v[16:17]
	;; [unrolled: 1-line block ×4, first 2 shown]
	v_add_f64 v[108:109], v[90:91], v[108:109]
	v_fma_f64 v[100:101], v[110:111], -0.5, v[114:115]
	v_fma_f64 v[86:87], v[142:143], s[12:13], v[6:7]
	v_add_f64 v[90:91], v[8:9], v[94:95]
	v_fma_f64 v[6:7], v[120:121], s[10:11], v[96:97]
	v_fma_f64 v[110:111], v[120:121], s[4:5], v[112:113]
	v_add_f64 v[94:95], v[102:103], -v[64:65]
	v_add_f64 v[112:113], v[98:99], -v[104:105]
	v_add_f64 v[127:128], v[0:1], v[70:71]
	v_fma_f64 v[125:126], v[120:121], s[0:1], v[100:101]
	v_fma_f64 v[100:101], v[120:121], s[6:7], v[100:101]
	;; [unrolled: 1-line block ×3, first 2 shown]
	v_add_f64 v[6:7], v[14:15], v[118:119]
	v_fma_f64 v[8:9], v[108:109], s[12:13], v[110:111]
	v_add_f64 v[110:111], v[102:103], v[114:115]
	v_add_f64 v[94:95], v[94:95], v[112:113]
	v_fma_f64 v[112:113], v[127:128], -0.5, v[76:77]
	v_fma_f64 v[108:109], v[106:107], s[4:5], v[125:126]
	v_add_f64 v[114:115], v[64:65], -v[104:105]
	v_fma_f64 v[106:107], v[106:107], s[10:11], v[100:101]
	v_fma_f64 v[6:7], v[6:7], -0.5, v[76:77]
	v_add_f64 v[76:77], v[76:77], v[0:1]
	v_add_f64 v[100:101], v[102:103], -v[98:99]
	v_add_f64 v[64:65], v[64:65], v[110:111]
	v_add_f64 v[102:103], v[14:15], -v[0:1]
	v_add_f64 v[0:1], v[0:1], -v[14:15]
	;; [unrolled: 1-line block ×3, first 2 shown]
	v_fma_f64 v[120:121], v[114:115], s[0:1], v[112:113]
	v_fma_f64 v[112:113], v[114:115], s[6:7], v[112:113]
	v_add_f64 v[14:15], v[14:15], v[76:77]
	v_add_f64 v[125:126], v[70:71], -v[118:119]
	v_fma_f64 v[127:128], v[100:101], s[6:7], v[6:7]
	v_fma_f64 v[6:7], v[100:101], s[0:1], v[6:7]
	v_add_f64 v[64:65], v[104:105], v[64:65]
	v_add_f64 v[76:77], v[102:103], v[110:111]
	v_fma_f64 v[102:103], v[100:101], s[10:11], v[120:121]
	v_fma_f64 v[110:111], v[100:101], s[4:5], v[112:113]
	v_add_f64 v[14:15], v[14:15], v[118:119]
	v_add_f64 v[0:1], v[0:1], v[125:126]
	v_fma_f64 v[112:113], v[114:115], s[10:11], v[127:128]
	v_fma_f64 v[114:115], v[114:115], s[4:5], v[6:7]
	;; [unrolled: 1-line block ×4, first 2 shown]
	v_add_f64 v[108:109], v[98:99], v[64:65]
	v_fma_f64 v[6:7], v[76:77], s[12:13], v[102:103]
	v_add_f64 v[106:107], v[14:15], v[70:71]
	v_fma_f64 v[94:95], v[76:77], s[12:13], v[110:111]
	v_fma_f64 v[98:99], v[0:1], s[12:13], v[112:113]
	;; [unrolled: 1-line block ×3, first 2 shown]
	v_mov_b32_e32 v0, s3
	v_add_co_u32_e32 v14, vcc, s2, v138
	v_addc_co_u32_e32 v15, vcc, v0, v139, vcc
	v_lshlrev_b64 v[0:1], 4, v[136:137]
	s_mov_b32 s1, 0xc0c0c0c1
	v_add_co_u32_e32 v0, vcc, v14, v0
	v_addc_co_u32_e32 v1, vcc, v15, v1, vcc
	global_store_dwordx4 v[0:1], v[106:109], off
	global_store_dwordx4 v[0:1], v[102:105], off offset:1360
	global_store_dwordx4 v[0:1], v[94:97], off offset:2720
	;; [unrolled: 1-line block ×3, first 2 shown]
	s_movk_i32 s0, 0x1000
	v_mul_hi_u32 v8, v122, s1
	v_add_co_u32_e32 v6, vcc, s0, v0
	v_addc_co_u32_e32 v7, vcc, 0, v1, vcc
	global_store_dwordx4 v[6:7], v[98:101], off offset:1344
	global_store_dwordx4 v[0:1], v[90:93], off offset:272
	;; [unrolled: 1-line block ×6, first 2 shown]
	v_lshrrev_b32_e32 v6, 6, v8
	v_mul_u32_u24_e32 v116, 0x154, v6
	v_lshlrev_b64 v[6:7], 4, v[116:117]
	s_movk_i32 s2, 0x220
	v_add_co_u32_e32 v6, vcc, v0, v6
	v_addc_co_u32_e32 v7, vcc, v1, v7, vcc
	v_add_co_u32_e32 v8, vcc, s2, v6
	v_addc_co_u32_e32 v9, vcc, 0, v7, vcc
	global_store_dwordx4 v[6:7], v[28:31], off offset:544
	global_store_dwordx4 v[6:7], v[20:23], off offset:1904
	;; [unrolled: 1-line block ×4, first 2 shown]
	v_mul_hi_u32 v4, v123, s1
	v_add_co_u32_e32 v2, vcc, s0, v6
	v_addc_co_u32_e32 v3, vcc, 0, v7, vcc
	global_store_dwordx4 v[2:3], v[10:13], off offset:1888
	v_lshrrev_b32_e32 v2, 6, v4
	v_mul_u32_u24_e32 v116, 0x154, v2
	v_lshlrev_b64 v[2:3], 4, v[116:117]
	s_movk_i32 s2, 0x330
	v_add_co_u32_e32 v2, vcc, v0, v2
	v_addc_co_u32_e32 v3, vcc, v1, v3, vcc
	v_add_co_u32_e32 v4, vcc, s2, v2
	v_addc_co_u32_e32 v5, vcc, 0, v3, vcc
	global_store_dwordx4 v[2:3], v[66:69], off offset:816
	global_store_dwordx4 v[2:3], v[60:63], off offset:2176
	;; [unrolled: 1-line block ×4, first 2 shown]
	v_mul_hi_u32 v4, v124, s1
	v_add_co_u32_e32 v2, vcc, s0, v2
	v_addc_co_u32_e32 v3, vcc, 0, v3, vcc
	global_store_dwordx4 v[2:3], v[48:51], off offset:2160
	v_lshrrev_b32_e32 v2, 6, v4
	v_mul_u32_u24_e32 v116, 0x154, v2
	v_lshlrev_b64 v[2:3], 4, v[116:117]
	s_movk_i32 s0, 0x440
	v_add_co_u32_e32 v0, vcc, v0, v2
	v_addc_co_u32_e32 v1, vcc, v1, v3, vcc
	v_add_co_u32_e32 v2, vcc, s0, v0
	v_addc_co_u32_e32 v3, vcc, 0, v1, vcc
	global_store_dwordx4 v[0:1], v[40:43], off offset:1088
	global_store_dwordx4 v[0:1], v[44:47], off offset:2448
	;; [unrolled: 1-line block ×4, first 2 shown]
	v_add_co_u32_e32 v0, vcc, 0x1000, v0
	v_addc_co_u32_e32 v1, vcc, 0, v1, vcc
	global_store_dwordx4 v[0:1], v[24:27], off offset:2432
.LBB0_18:
	s_endpgm
	.section	.rodata,"a",@progbits
	.p2align	6, 0x0
	.amdhsa_kernel fft_rtc_back_len425_factors_17_5_5_wgs_51_tpt_17_halfLds_dp_ip_CI_unitstride_sbrr_dirReg
		.amdhsa_group_segment_fixed_size 0
		.amdhsa_private_segment_fixed_size 0
		.amdhsa_kernarg_size 88
		.amdhsa_user_sgpr_count 6
		.amdhsa_user_sgpr_private_segment_buffer 1
		.amdhsa_user_sgpr_dispatch_ptr 0
		.amdhsa_user_sgpr_queue_ptr 0
		.amdhsa_user_sgpr_kernarg_segment_ptr 1
		.amdhsa_user_sgpr_dispatch_id 0
		.amdhsa_user_sgpr_flat_scratch_init 0
		.amdhsa_user_sgpr_private_segment_size 0
		.amdhsa_uses_dynamic_stack 0
		.amdhsa_system_sgpr_private_segment_wavefront_offset 0
		.amdhsa_system_sgpr_workgroup_id_x 1
		.amdhsa_system_sgpr_workgroup_id_y 0
		.amdhsa_system_sgpr_workgroup_id_z 0
		.amdhsa_system_sgpr_workgroup_info 0
		.amdhsa_system_vgpr_workitem_id 0
		.amdhsa_next_free_vgpr 230
		.amdhsa_next_free_sgpr 58
		.amdhsa_reserve_vcc 1
		.amdhsa_reserve_flat_scratch 0
		.amdhsa_float_round_mode_32 0
		.amdhsa_float_round_mode_16_64 0
		.amdhsa_float_denorm_mode_32 3
		.amdhsa_float_denorm_mode_16_64 3
		.amdhsa_dx10_clamp 1
		.amdhsa_ieee_mode 1
		.amdhsa_fp16_overflow 0
		.amdhsa_exception_fp_ieee_invalid_op 0
		.amdhsa_exception_fp_denorm_src 0
		.amdhsa_exception_fp_ieee_div_zero 0
		.amdhsa_exception_fp_ieee_overflow 0
		.amdhsa_exception_fp_ieee_underflow 0
		.amdhsa_exception_fp_ieee_inexact 0
		.amdhsa_exception_int_div_zero 0
	.end_amdhsa_kernel
	.text
.Lfunc_end0:
	.size	fft_rtc_back_len425_factors_17_5_5_wgs_51_tpt_17_halfLds_dp_ip_CI_unitstride_sbrr_dirReg, .Lfunc_end0-fft_rtc_back_len425_factors_17_5_5_wgs_51_tpt_17_halfLds_dp_ip_CI_unitstride_sbrr_dirReg
                                        ; -- End function
	.section	.AMDGPU.csdata,"",@progbits
; Kernel info:
; codeLenInByte = 21532
; NumSgprs: 62
; NumVgprs: 230
; ScratchSize: 0
; MemoryBound: 1
; FloatMode: 240
; IeeeMode: 1
; LDSByteSize: 0 bytes/workgroup (compile time only)
; SGPRBlocks: 7
; VGPRBlocks: 57
; NumSGPRsForWavesPerEU: 62
; NumVGPRsForWavesPerEU: 230
; Occupancy: 1
; WaveLimiterHint : 1
; COMPUTE_PGM_RSRC2:SCRATCH_EN: 0
; COMPUTE_PGM_RSRC2:USER_SGPR: 6
; COMPUTE_PGM_RSRC2:TRAP_HANDLER: 0
; COMPUTE_PGM_RSRC2:TGID_X_EN: 1
; COMPUTE_PGM_RSRC2:TGID_Y_EN: 0
; COMPUTE_PGM_RSRC2:TGID_Z_EN: 0
; COMPUTE_PGM_RSRC2:TIDIG_COMP_CNT: 0
	.type	__hip_cuid_6c45c1dd11446614,@object ; @__hip_cuid_6c45c1dd11446614
	.section	.bss,"aw",@nobits
	.globl	__hip_cuid_6c45c1dd11446614
__hip_cuid_6c45c1dd11446614:
	.byte	0                               ; 0x0
	.size	__hip_cuid_6c45c1dd11446614, 1

	.ident	"AMD clang version 19.0.0git (https://github.com/RadeonOpenCompute/llvm-project roc-6.4.0 25133 c7fe45cf4b819c5991fe208aaa96edf142730f1d)"
	.section	".note.GNU-stack","",@progbits
	.addrsig
	.addrsig_sym __hip_cuid_6c45c1dd11446614
	.amdgpu_metadata
---
amdhsa.kernels:
  - .args:
      - .actual_access:  read_only
        .address_space:  global
        .offset:         0
        .size:           8
        .value_kind:     global_buffer
      - .offset:         8
        .size:           8
        .value_kind:     by_value
      - .actual_access:  read_only
        .address_space:  global
        .offset:         16
        .size:           8
        .value_kind:     global_buffer
      - .actual_access:  read_only
        .address_space:  global
        .offset:         24
        .size:           8
        .value_kind:     global_buffer
      - .offset:         32
        .size:           8
        .value_kind:     by_value
      - .actual_access:  read_only
        .address_space:  global
        .offset:         40
        .size:           8
        .value_kind:     global_buffer
      - .actual_access:  read_only
        .address_space:  global
        .offset:         48
        .size:           8
        .value_kind:     global_buffer
      - .offset:         56
        .size:           4
        .value_kind:     by_value
      - .actual_access:  read_only
        .address_space:  global
        .offset:         64
        .size:           8
        .value_kind:     global_buffer
      - .actual_access:  read_only
        .address_space:  global
        .offset:         72
        .size:           8
        .value_kind:     global_buffer
      - .address_space:  global
        .offset:         80
        .size:           8
        .value_kind:     global_buffer
    .group_segment_fixed_size: 0
    .kernarg_segment_align: 8
    .kernarg_segment_size: 88
    .language:       OpenCL C
    .language_version:
      - 2
      - 0
    .max_flat_workgroup_size: 51
    .name:           fft_rtc_back_len425_factors_17_5_5_wgs_51_tpt_17_halfLds_dp_ip_CI_unitstride_sbrr_dirReg
    .private_segment_fixed_size: 0
    .sgpr_count:     62
    .sgpr_spill_count: 0
    .symbol:         fft_rtc_back_len425_factors_17_5_5_wgs_51_tpt_17_halfLds_dp_ip_CI_unitstride_sbrr_dirReg.kd
    .uniform_work_group_size: 1
    .uses_dynamic_stack: false
    .vgpr_count:     230
    .vgpr_spill_count: 0
    .wavefront_size: 64
amdhsa.target:   amdgcn-amd-amdhsa--gfx906
amdhsa.version:
  - 1
  - 2
...

	.end_amdgpu_metadata
